;; amdgpu-corpus repo=ROCm/rocFFT kind=compiled arch=gfx1201 opt=O3
	.text
	.amdgcn_target "amdgcn-amd-amdhsa--gfx1201"
	.amdhsa_code_object_version 6
	.protected	fft_rtc_fwd_len289_factors_17_17_wgs_119_tpt_17_dp_op_CI_CI_sbcc_twdbase6_3step ; -- Begin function fft_rtc_fwd_len289_factors_17_17_wgs_119_tpt_17_dp_op_CI_CI_sbcc_twdbase6_3step
	.globl	fft_rtc_fwd_len289_factors_17_17_wgs_119_tpt_17_dp_op_CI_CI_sbcc_twdbase6_3step
	.p2align	8
	.type	fft_rtc_fwd_len289_factors_17_17_wgs_119_tpt_17_dp_op_CI_CI_sbcc_twdbase6_3step,@function
fft_rtc_fwd_len289_factors_17_17_wgs_119_tpt_17_dp_op_CI_CI_sbcc_twdbase6_3step: ; @fft_rtc_fwd_len289_factors_17_17_wgs_119_tpt_17_dp_op_CI_CI_sbcc_twdbase6_3step
; %bb.0:
	s_clause 0x2
	s_load_b64 s[22:23], s[0:1], 0x0
	s_load_b256 s[4:11], s[0:1], 0x8
	s_load_b64 s[26:27], s[0:1], 0x28
	s_mov_b32 s3, exec_lo
	v_cmpx_gt_u32_e32 0xc0, v0
	s_cbranch_execz .LBB0_3
; %bb.1:
	v_lshlrev_b32_e32 v5, 4, v0
	v_add_co_u32 v1, s2, 0xffffff89, v0
	s_delay_alu instid0(VALU_DEP_1) | instskip(SKIP_1) | instid1(VALU_DEP_3)
	v_add_co_ci_u32_e64 v2, null, 0, -1, s2
	s_wait_kmcnt 0x0
	v_add_co_u32 v3, s2, s4, v5
	s_wait_alu 0xf1ff
	v_add_co_ci_u32_e64 v4, null, s5, 0, s2
	v_add3_u32 v5, v5, 0, 0x7e70
	s_mov_b32 s4, 0
.LBB0_2:                                ; =>This Inner Loop Header: Depth=1
	global_load_b128 v[6:9], v[3:4], off
	v_add_co_u32 v1, vcc_lo, 0x77, v1
	s_wait_alu 0xfffd
	v_add_co_ci_u32_e32 v2, vcc_lo, 0, v2, vcc_lo
	v_add_co_u32 v3, vcc_lo, 0x770, v3
	s_wait_alu 0xfffd
	v_add_co_ci_u32_e32 v4, vcc_lo, 0, v4, vcc_lo
	s_delay_alu instid0(VALU_DEP_3) | instskip(SKIP_1) | instid1(VALU_DEP_1)
	v_cmp_lt_u64_e64 s2, 0x48, v[1:2]
	s_wait_alu 0xfffe
	s_or_b32 s4, s2, s4
	s_wait_loadcnt 0x0
	ds_store_2addr_b64 v5, v[6:7], v[8:9] offset1:1
	v_add_nc_u32_e32 v5, 0x770, v5
	s_wait_alu 0xfffe
	s_and_not1_b32 exec_lo, exec_lo, s4
	s_cbranch_execnz .LBB0_2
.LBB0_3:
	s_or_b32 exec_lo, exec_lo, s3
	s_mov_b32 s31, 0
	s_wait_kmcnt 0x0
	s_mov_b32 s4, 0x92481000
	s_movk_i32 s5, 0x64
	s_mov_b32 s30, s31
	s_load_b64 s[28:29], s[8:9], 0x8
	s_add_nc_u64 s[4:5], s[30:31], s[4:5]
	s_load_b128 s[0:3], s[0:1], 0x60
	s_add_co_i32 s5, s5, 0x249248c0
	s_mov_b64 s[20:21], 0
	s_wait_alu 0xfffe
	s_mul_u64 s[12:13], s[4:5], -7
	s_delay_alu instid0(SALU_CYCLE_1)
	s_mul_hi_u32 s15, s4, s13
	s_mul_i32 s14, s4, s13
	s_mul_hi_u32 s30, s4, s12
	s_mul_hi_u32 s16, s5, s12
	s_mul_i32 s12, s5, s12
	s_add_nc_u64 s[14:15], s[30:31], s[14:15]
	s_mul_hi_u32 s17, s5, s13
	s_add_co_u32 s12, s14, s12
	s_add_co_ci_u32 s30, s15, s16
	s_add_co_ci_u32 s15, s17, 0
	s_mul_i32 s14, s5, s13
	s_delay_alu instid0(SALU_CYCLE_1) | instskip(SKIP_3) | instid1(VALU_DEP_1)
	s_add_nc_u64 s[12:13], s[30:31], s[14:15]
	s_wait_kmcnt 0x0
	s_add_nc_u64 s[14:15], s[28:29], -1
	v_add_co_u32 v1, s4, s4, s12
	s_cmp_lg_u32 s4, 0
	s_add_co_ci_u32 s12, s5, s13
	s_delay_alu instid0(VALU_DEP_1)
	v_readfirstlane_b32 s13, v1
	s_wait_alu 0xfffe
	s_mul_hi_u32 s5, s14, s12
	s_mul_i32 s4, s14, s12
	s_mul_hi_u32 s16, s15, s12
	s_mul_i32 s12, s15, s12
	;; [unrolled: 2-line block ×3, first 2 shown]
	s_wait_alu 0xfffe
	s_add_nc_u64 s[4:5], s[30:31], s[4:5]
	s_mul_hi_u32 s13, s15, s13
	s_wait_alu 0xfffe
	s_add_co_u32 s4, s4, s17
	s_add_co_ci_u32 s30, s5, s13
	s_add_co_ci_u32 s13, s16, 0
	s_wait_alu 0xfffe
	s_add_nc_u64 s[4:5], s[30:31], s[12:13]
	s_mov_b32 s30, ttmp9
	s_wait_alu 0xfffe
	s_mul_u64 s[12:13], s[4:5], 7
	s_wait_alu 0xfffe
	v_sub_co_u32 v1, s12, s14, s12
	s_delay_alu instid0(VALU_DEP_1) | instskip(SKIP_1) | instid1(VALU_DEP_1)
	s_cmp_lg_u32 s12, 0
	s_sub_co_ci_u32 s16, s15, s13
	v_sub_co_u32 v2, s14, v1, 7
	s_delay_alu instid0(VALU_DEP_1) | instskip(SKIP_2) | instid1(VALU_DEP_2)
	s_cmp_lg_u32 s14, 0
	v_readfirstlane_b32 s18, v1
	s_sub_co_ci_u32 s14, s16, 0
	v_readfirstlane_b32 s12, v2
	s_delay_alu instid0(VALU_DEP_1)
	s_cmp_gt_u32 s12, 6
	s_add_nc_u64 s[12:13], s[4:5], 1
	s_cselect_b32 s17, -1, 0
	s_wait_alu 0xfffe
	s_cmp_eq_u32 s14, 0
	s_add_nc_u64 s[14:15], s[4:5], 2
	s_cselect_b32 s17, s17, -1
	s_delay_alu instid0(SALU_CYCLE_1)
	s_cmp_lg_u32 s17, 0
	s_wait_alu 0xfffe
	s_cselect_b32 s12, s14, s12
	s_cselect_b32 s13, s15, s13
	s_cmp_gt_u32 s18, 6
	s_cselect_b32 s14, -1, 0
	s_cmp_eq_u32 s16, 0
	s_wait_alu 0xfffe
	s_cselect_b32 s14, s14, -1
	s_wait_alu 0xfffe
	s_cmp_lg_u32 s14, 0
	s_cselect_b32 s5, s13, s5
	s_cselect_b32 s4, s12, s4
	s_wait_alu 0xfffe
	s_add_nc_u64 s[36:37], s[4:5], 1
	s_delay_alu instid0(SALU_CYCLE_1) | instskip(NEXT) | instid1(VALU_DEP_1)
	v_cmp_lt_u64_e64 s4, s[30:31], s[36:37]
	s_and_b32 vcc_lo, exec_lo, s4
	s_wait_alu 0xfffe
	s_cbranch_vccnz .LBB0_5
; %bb.4:
	v_cvt_f32_u32_e32 v1, s36
	s_sub_co_i32 s5, 0, s36
	s_mov_b32 s21, s31
	s_delay_alu instid0(VALU_DEP_1) | instskip(NEXT) | instid1(TRANS32_DEP_1)
	v_rcp_iflag_f32_e32 v1, v1
	v_mul_f32_e32 v1, 0x4f7ffffe, v1
	s_delay_alu instid0(VALU_DEP_1) | instskip(NEXT) | instid1(VALU_DEP_1)
	v_cvt_u32_f32_e32 v1, v1
	v_readfirstlane_b32 s4, v1
	s_wait_alu 0xfffe
	s_delay_alu instid0(VALU_DEP_1)
	s_mul_i32 s5, s5, s4
	s_wait_alu 0xfffe
	s_mul_hi_u32 s5, s4, s5
	s_wait_alu 0xfffe
	s_add_co_i32 s4, s4, s5
	s_wait_alu 0xfffe
	s_mul_hi_u32 s4, s30, s4
	s_wait_alu 0xfffe
	s_mul_i32 s5, s4, s36
	s_add_co_i32 s12, s4, 1
	s_wait_alu 0xfffe
	s_sub_co_i32 s5, s30, s5
	s_wait_alu 0xfffe
	s_sub_co_i32 s13, s5, s36
	s_cmp_ge_u32 s5, s36
	s_cselect_b32 s4, s12, s4
	s_wait_alu 0xfffe
	s_cselect_b32 s5, s13, s5
	s_add_co_i32 s12, s4, 1
	s_wait_alu 0xfffe
	s_cmp_ge_u32 s5, s36
	s_cselect_b32 s20, s12, s4
.LBB0_5:
	s_load_b128 s[16:19], s[10:11], 0x0
	s_load_b128 s[12:15], s[26:27], 0x0
	v_cmp_lt_u64_e64 s33, s[6:7], 3
	s_mul_u64 s[4:5], s[20:21], s[36:37]
	s_wait_alu 0xfffe
	s_sub_nc_u64 s[4:5], s[30:31], s[4:5]
	s_wait_alu 0xfffe
	s_mul_u64 s[24:25], s[4:5], 7
	s_and_b32 vcc_lo, exec_lo, s33
	s_wait_kmcnt 0x0
	s_mul_u64 s[34:35], s[18:19], s[24:25]
	s_mul_u64 s[4:5], s[14:15], s[24:25]
	s_wait_alu 0xfffe
	s_cbranch_vccnz .LBB0_15
; %bb.6:
	s_add_nc_u64 s[38:39], s[26:27], 16
	s_add_nc_u64 s[40:41], s[10:11], 16
	s_add_nc_u64 s[8:9], s[8:9], 16
	s_mov_b64 s[42:43], 2
	s_mov_b32 s44, 0
.LBB0_7:                                ; =>This Inner Loop Header: Depth=1
	s_load_b64 s[46:47], s[8:9], 0x0
                                        ; implicit-def: $sgpr50_sgpr51
	s_wait_kmcnt 0x0
	s_or_b64 s[48:49], s[20:21], s[46:47]
	s_delay_alu instid0(SALU_CYCLE_1)
	s_mov_b32 s45, s49
	s_mov_b32 s49, -1
	s_cmp_lg_u64 s[44:45], 0
	s_cbranch_scc0 .LBB0_9
; %bb.8:                                ;   in Loop: Header=BB0_7 Depth=1
	s_cvt_f32_u32 s33, s46
	s_cvt_f32_u32 s45, s47
	s_sub_nc_u64 s[52:53], 0, s[46:47]
	s_mov_b32 s49, 0
	s_mov_b32 s57, s44
	s_wait_alu 0xfffe
	s_fmamk_f32 s33, s45, 0x4f800000, s33
	s_wait_alu 0xfffe
	s_delay_alu instid0(SALU_CYCLE_2) | instskip(NEXT) | instid1(TRANS32_DEP_1)
	v_s_rcp_f32 s33, s33
	s_mul_f32 s33, s33, 0x5f7ffffc
	s_wait_alu 0xfffe
	s_delay_alu instid0(SALU_CYCLE_2) | instskip(NEXT) | instid1(SALU_CYCLE_3)
	s_mul_f32 s45, s33, 0x2f800000
	s_trunc_f32 s45, s45
	s_delay_alu instid0(SALU_CYCLE_3) | instskip(SKIP_2) | instid1(SALU_CYCLE_1)
	s_fmamk_f32 s33, s45, 0xcf800000, s33
	s_cvt_u32_f32 s51, s45
	s_wait_alu 0xfffe
	s_cvt_u32_f32 s50, s33
	s_wait_alu 0xfffe
	s_delay_alu instid0(SALU_CYCLE_2)
	s_mul_u64 s[54:55], s[52:53], s[50:51]
	s_wait_alu 0xfffe
	s_mul_hi_u32 s59, s50, s55
	s_mul_i32 s58, s50, s55
	s_mul_hi_u32 s48, s50, s54
	s_mul_i32 s45, s51, s54
	s_add_nc_u64 s[58:59], s[48:49], s[58:59]
	s_mul_hi_u32 s33, s51, s54
	s_mul_hi_u32 s60, s51, s55
	s_add_co_u32 s45, s58, s45
	s_wait_alu 0xfffe
	s_add_co_ci_u32 s56, s59, s33
	s_mul_i32 s54, s51, s55
	s_add_co_ci_u32 s55, s60, 0
	s_wait_alu 0xfffe
	s_add_nc_u64 s[54:55], s[56:57], s[54:55]
	s_wait_alu 0xfffe
	v_add_co_u32 v1, s33, s50, s54
	s_delay_alu instid0(VALU_DEP_1) | instskip(SKIP_1) | instid1(VALU_DEP_1)
	s_cmp_lg_u32 s33, 0
	s_add_co_ci_u32 s51, s51, s55
	v_readfirstlane_b32 s50, v1
	s_mov_b32 s55, s44
	s_wait_alu 0xfffe
	s_delay_alu instid0(VALU_DEP_1)
	s_mul_u64 s[52:53], s[52:53], s[50:51]
	s_wait_alu 0xfffe
	s_mul_hi_u32 s57, s50, s53
	s_mul_i32 s56, s50, s53
	s_mul_hi_u32 s48, s50, s52
	s_mul_i32 s45, s51, s52
	s_add_nc_u64 s[56:57], s[48:49], s[56:57]
	s_mul_hi_u32 s33, s51, s52
	s_mul_hi_u32 s50, s51, s53
	s_add_co_u32 s45, s56, s45
	s_wait_alu 0xfffe
	s_add_co_ci_u32 s54, s57, s33
	s_mul_i32 s52, s51, s53
	s_add_co_ci_u32 s53, s50, 0
	s_wait_alu 0xfffe
	s_add_nc_u64 s[52:53], s[54:55], s[52:53]
	s_wait_alu 0xfffe
	v_add_co_u32 v1, s33, v1, s52
	s_delay_alu instid0(VALU_DEP_1) | instskip(SKIP_1) | instid1(VALU_DEP_1)
	s_cmp_lg_u32 s33, 0
	s_add_co_ci_u32 s33, s51, s53
	v_readfirstlane_b32 s45, v1
	s_wait_alu 0xfffe
	s_mul_hi_u32 s51, s20, s33
	s_mul_i32 s50, s20, s33
	s_mul_hi_u32 s53, s21, s33
	s_mul_i32 s52, s21, s33
	;; [unrolled: 2-line block ×3, first 2 shown]
	s_wait_alu 0xfffe
	s_add_nc_u64 s[50:51], s[48:49], s[50:51]
	s_mul_hi_u32 s45, s21, s45
	s_wait_alu 0xfffe
	s_add_co_u32 s33, s50, s33
	s_add_co_ci_u32 s54, s51, s45
	s_add_co_ci_u32 s53, s53, 0
	s_wait_alu 0xfffe
	s_add_nc_u64 s[50:51], s[54:55], s[52:53]
	s_wait_alu 0xfffe
	s_mul_u64 s[52:53], s[46:47], s[50:51]
	s_add_nc_u64 s[54:55], s[50:51], 1
	s_wait_alu 0xfffe
	v_sub_co_u32 v1, s33, s20, s52
	s_sub_co_i32 s45, s21, s53
	s_cmp_lg_u32 s33, 0
	s_add_nc_u64 s[56:57], s[50:51], 2
	s_delay_alu instid0(VALU_DEP_1) | instskip(SKIP_2) | instid1(VALU_DEP_1)
	v_sub_co_u32 v2, s48, v1, s46
	s_sub_co_ci_u32 s45, s45, s47
	s_cmp_lg_u32 s48, 0
	v_readfirstlane_b32 s48, v2
	s_sub_co_ci_u32 s45, s45, 0
	s_delay_alu instid0(SALU_CYCLE_1) | instskip(SKIP_1) | instid1(VALU_DEP_1)
	s_cmp_ge_u32 s45, s47
	s_cselect_b32 s52, -1, 0
	s_cmp_ge_u32 s48, s46
	s_cselect_b32 s48, -1, 0
	s_cmp_eq_u32 s45, s47
	s_wait_alu 0xfffe
	s_cselect_b32 s45, s48, s52
	s_delay_alu instid0(SALU_CYCLE_1)
	s_cmp_lg_u32 s45, 0
	s_cselect_b32 s45, s56, s54
	s_cselect_b32 s48, s57, s55
	s_cmp_lg_u32 s33, 0
	v_readfirstlane_b32 s33, v1
	s_sub_co_ci_u32 s52, s21, s53
	s_wait_alu 0xfffe
	s_cmp_ge_u32 s52, s47
	s_cselect_b32 s53, -1, 0
	s_cmp_ge_u32 s33, s46
	s_cselect_b32 s33, -1, 0
	s_cmp_eq_u32 s52, s47
	s_wait_alu 0xfffe
	s_cselect_b32 s33, s33, s53
	s_wait_alu 0xfffe
	s_cmp_lg_u32 s33, 0
	s_cselect_b32 s51, s48, s51
	s_cselect_b32 s50, s45, s50
.LBB0_9:                                ;   in Loop: Header=BB0_7 Depth=1
	s_and_not1_b32 vcc_lo, exec_lo, s49
	s_wait_alu 0xfffe
	s_cbranch_vccnz .LBB0_11
; %bb.10:                               ;   in Loop: Header=BB0_7 Depth=1
	v_cvt_f32_u32_e32 v1, s46
	s_sub_co_i32 s45, 0, s46
	s_mov_b32 s51, s44
	s_delay_alu instid0(VALU_DEP_1) | instskip(NEXT) | instid1(TRANS32_DEP_1)
	v_rcp_iflag_f32_e32 v1, v1
	v_mul_f32_e32 v1, 0x4f7ffffe, v1
	s_delay_alu instid0(VALU_DEP_1) | instskip(NEXT) | instid1(VALU_DEP_1)
	v_cvt_u32_f32_e32 v1, v1
	v_readfirstlane_b32 s33, v1
	s_delay_alu instid0(VALU_DEP_1) | instskip(NEXT) | instid1(SALU_CYCLE_1)
	s_mul_i32 s45, s45, s33
	s_mul_hi_u32 s45, s33, s45
	s_delay_alu instid0(SALU_CYCLE_1)
	s_add_co_i32 s33, s33, s45
	s_wait_alu 0xfffe
	s_mul_hi_u32 s33, s20, s33
	s_wait_alu 0xfffe
	s_mul_i32 s45, s33, s46
	s_add_co_i32 s48, s33, 1
	s_sub_co_i32 s45, s20, s45
	s_delay_alu instid0(SALU_CYCLE_1)
	s_sub_co_i32 s49, s45, s46
	s_cmp_ge_u32 s45, s46
	s_cselect_b32 s33, s48, s33
	s_cselect_b32 s45, s49, s45
	s_wait_alu 0xfffe
	s_add_co_i32 s48, s33, 1
	s_cmp_ge_u32 s45, s46
	s_cselect_b32 s50, s48, s33
.LBB0_11:                               ;   in Loop: Header=BB0_7 Depth=1
	s_load_b64 s[48:49], s[40:41], 0x0
	s_load_b64 s[52:53], s[38:39], 0x0
	s_add_nc_u64 s[42:43], s[42:43], 1
	s_mul_u64 s[36:37], s[46:47], s[36:37]
	s_wait_alu 0xfffe
	v_cmp_ge_u64_e64 s33, s[42:43], s[6:7]
	s_mul_u64 s[46:47], s[50:51], s[46:47]
	s_add_nc_u64 s[38:39], s[38:39], 8
	s_wait_alu 0xfffe
	s_sub_nc_u64 s[20:21], s[20:21], s[46:47]
	s_add_nc_u64 s[40:41], s[40:41], 8
	s_add_nc_u64 s[8:9], s[8:9], 8
	s_and_b32 vcc_lo, exec_lo, s33
	s_wait_kmcnt 0x0
	s_wait_alu 0xfffe
	s_mul_u64 s[46:47], s[48:49], s[20:21]
	s_mul_u64 s[20:21], s[52:53], s[20:21]
	s_wait_alu 0xfffe
	s_add_nc_u64 s[34:35], s[46:47], s[34:35]
	s_add_nc_u64 s[4:5], s[20:21], s[4:5]
	s_cbranch_vccnz .LBB0_13
; %bb.12:                               ;   in Loop: Header=BB0_7 Depth=1
	s_mov_b64 s[20:21], s[50:51]
	s_branch .LBB0_7
.LBB0_13:
	v_cmp_lt_u64_e64 s8, s[30:31], s[36:37]
	s_mov_b64 s[20:21], 0
	s_delay_alu instid0(VALU_DEP_1)
	s_and_b32 vcc_lo, exec_lo, s8
	s_wait_alu 0xfffe
	s_cbranch_vccnz .LBB0_15
; %bb.14:
	v_cvt_f32_u32_e32 v1, s36
	s_sub_co_i32 s9, 0, s36
	s_delay_alu instid0(VALU_DEP_1) | instskip(NEXT) | instid1(TRANS32_DEP_1)
	v_rcp_iflag_f32_e32 v1, v1
	v_mul_f32_e32 v1, 0x4f7ffffe, v1
	s_delay_alu instid0(VALU_DEP_1) | instskip(NEXT) | instid1(VALU_DEP_1)
	v_cvt_u32_f32_e32 v1, v1
	v_readfirstlane_b32 s8, v1
	s_delay_alu instid0(VALU_DEP_1) | instskip(NEXT) | instid1(SALU_CYCLE_1)
	s_mul_i32 s9, s9, s8
	s_mul_hi_u32 s9, s8, s9
	s_delay_alu instid0(SALU_CYCLE_1) | instskip(NEXT) | instid1(SALU_CYCLE_1)
	s_add_co_i32 s8, s8, s9
	s_mul_hi_u32 s8, s30, s8
	s_delay_alu instid0(SALU_CYCLE_1) | instskip(SKIP_2) | instid1(SALU_CYCLE_1)
	s_mul_i32 s9, s8, s36
	s_add_co_i32 s20, s8, 1
	s_sub_co_i32 s9, s30, s9
	s_sub_co_i32 s21, s9, s36
	s_cmp_ge_u32 s9, s36
	s_wait_alu 0xfffe
	s_cselect_b32 s8, s20, s8
	s_cselect_b32 s9, s21, s9
	s_add_co_i32 s20, s8, 1
	s_cmp_ge_u32 s9, s36
	s_mov_b32 s21, 0
	s_wait_alu 0xfffe
	s_cselect_b32 s20, s20, s8
.LBB0_15:
	v_mul_hi_u32 v101, 0x24924925, v0
	s_lshl_b64 s[8:9], s[6:7], 3
	s_add_nc_u64 s[6:7], s[24:25], 7
	v_mov_b32_e32 v57, 0
	s_wait_alu 0xfffe
	v_cmp_le_u64_e64 s30, s[6:7], s[28:29]
	s_delay_alu instid0(VALU_DEP_3)
	v_add_nc_u32_e32 v102, 17, v101
	v_mul_u32_u24_e32 v1, 7, v101
	v_lshlrev_b32_e32 v103, 4, v101
	v_add_nc_u32_e32 v99, 34, v101
	v_add_nc_u32_e32 v100, 51, v101
	;; [unrolled: 1-line block ×3, first 2 shown]
	v_sub_nc_u32_e32 v104, v0, v1
	v_add_nc_u32_e32 v97, 0x55, v101
	v_add_nc_u32_e32 v95, 0x66, v101
	;; [unrolled: 1-line block ×4, first 2 shown]
	v_add_co_u32 v1, s6, s24, v104
	s_wait_alu 0xf1ff
	v_add_co_ci_u32_e64 v2, null, s25, 0, s6
	v_mul_lo_u32 v105, 0x1210, v104
	v_add_nc_u32_e32 v93, 0x99, v101
	v_add_nc_u32_e32 v92, 0xaa, v101
	s_delay_alu instid0(VALU_DEP_4)
	v_cmp_gt_u64_e32 vcc_lo, s[28:29], v[1:2]
	v_add_nc_u32_e32 v91, 0xbb, v101
	v_add_nc_u32_e32 v90, 0xcc, v101
	;; [unrolled: 1-line block ×6, first 2 shown]
	s_add_nc_u64 s[6:7], s[26:27], s[8:9]
	s_or_b32 s33, s30, vcc_lo
	s_wait_alu 0xfffe
	s_and_saveexec_b32 s26, s33
	s_cbranch_execz .LBB0_17
; %bb.16:
	s_add_nc_u64 s[8:9], s[10:11], s[8:9]
	v_mad_co_u64_u32 v[1:2], null, s18, v104, 0
	s_load_b64 s[8:9], s[8:9], 0x0
	v_mad_co_u64_u32 v[3:4], null, s16, v101, 0
	v_mad_co_u64_u32 v[5:6], null, s16, v102, 0
	s_lshl_b64 s[10:11], s[34:35], 4
	v_mad_co_u64_u32 v[19:20], null, s16, v97, 0
	v_mad_co_u64_u32 v[17:18], null, s16, v98, 0
	s_delay_alu instid0(VALU_DEP_4) | instskip(NEXT) | instid1(VALU_DEP_4)
	v_mad_co_u64_u32 v[7:8], null, s19, v104, v[2:3]
	v_mov_b32_e32 v2, v6
	v_mad_co_u64_u32 v[8:9], null, s17, v101, v[4:5]
	v_mad_co_u64_u32 v[12:13], null, s16, v100, 0
	s_delay_alu instid0(VALU_DEP_3)
	v_mad_co_u64_u32 v[9:10], null, s17, v102, v[2:3]
	v_mov_b32_e32 v2, v7
	s_wait_kmcnt 0x0
	s_mul_u64 s[8:9], s[8:9], s[20:21]
	v_mad_co_u64_u32 v[10:11], null, s16, v99, 0
	s_lshl_b64 s[8:9], s[8:9], 4
	v_lshlrev_b64_e32 v[1:2], 4, v[1:2]
	s_add_nc_u64 s[0:1], s[0:1], s[8:9]
	v_mov_b32_e32 v6, v9
	s_add_nc_u64 s[0:1], s[0:1], s[10:11]
	v_mov_b32_e32 v4, v8
	v_mad_co_u64_u32 v[33:34], null, s16, v94, 0
	v_add_co_u32 v66, vcc_lo, s0, v1
	s_wait_alu 0xfffd
	v_add_co_ci_u32_e32 v67, vcc_lo, s1, v2, vcc_lo
	v_lshlrev_b64_e32 v[1:2], 4, v[5:6]
	v_mov_b32_e32 v5, v11
	v_mad_co_u64_u32 v[21:22], null, s16, v95, 0
	v_mad_co_u64_u32 v[41:42], null, s16, v92, 0
	s_delay_alu instid0(VALU_DEP_3)
	v_mad_co_u64_u32 v[5:6], null, s17, v99, v[5:6]
	v_mov_b32_e32 v6, v13
	v_mad_co_u64_u32 v[23:24], null, s16, v96, 0
	v_mad_co_u64_u32 v[49:50], null, s16, v90, 0
	;; [unrolled: 1-line block ×3, first 2 shown]
	v_mov_b32_e32 v11, v5
	v_mad_co_u64_u32 v[35:36], null, s16, v93, 0
	v_mad_co_u64_u32 v[43:44], null, s16, v91, 0
	s_delay_alu instid0(VALU_DEP_3)
	v_lshlrev_b64_e32 v[9:10], 4, v[10:11]
	v_mov_b32_e32 v11, v18
	v_lshlrev_b64_e32 v[3:4], 4, v[3:4]
	v_mad_co_u64_u32 v[53:54], null, s16, v88, 0
	v_mad_co_u64_u32 v[55:56], null, s16, v87, 0
	v_mov_b32_e32 v38, v44
	s_delay_alu instid0(VALU_DEP_4)
	v_add_co_u32 v3, vcc_lo, v66, v3
	s_wait_alu 0xfffd
	v_add_co_ci_u32_e32 v4, vcc_lo, v67, v4, vcc_lo
	v_add_co_u32 v7, vcc_lo, v66, v1
	s_wait_alu 0xfffd
	v_add_co_ci_u32_e32 v8, vcc_lo, v67, v2, vcc_lo
	v_add_co_u32 v9, vcc_lo, v66, v9
	s_delay_alu instid0(VALU_DEP_3)
	v_mad_co_u64_u32 v[13:14], null, s17, v100, v[6:7]
	s_wait_alu 0xfffd
	v_add_co_ci_u32_e32 v10, vcc_lo, v67, v10, vcc_lo
	s_clause 0x1
	global_load_b128 v[1:4], v[3:4], off
	global_load_b128 v[5:8], v[7:8], off
	v_add3_u32 v70, 0, v105, v103
	v_mov_b32_e32 v47, v50
	v_lshlrev_b64_e32 v[12:13], 4, v[12:13]
	s_delay_alu instid0(VALU_DEP_1)
	v_mad_co_u64_u32 v[14:15], null, s17, v98, v[11:12]
	v_mov_b32_e32 v11, v20
	v_add_co_u32 v15, vcc_lo, v66, v12
	v_mov_b32_e32 v12, v22
	v_mov_b32_e32 v22, v24
	s_wait_alu 0xfffd
	v_add_co_ci_u32_e32 v16, vcc_lo, v67, v13, vcc_lo
	v_mov_b32_e32 v18, v14
	v_mad_co_u64_u32 v[25:26], null, s17, v97, v[11:12]
	v_mad_co_u64_u32 v[26:27], null, s17, v95, v[12:13]
	s_delay_alu instid0(VALU_DEP_3)
	v_lshlrev_b64_e32 v[17:18], 4, v[17:18]
	s_clause 0x1
	global_load_b128 v[9:12], v[9:10], off
	global_load_b128 v[13:16], v[15:16], off
	v_mov_b32_e32 v20, v25
	v_mad_co_u64_u32 v[24:25], null, s17, v96, v[22:23]
	v_mov_b32_e32 v22, v26
	v_add_co_u32 v17, vcc_lo, v66, v17
	s_delay_alu instid0(VALU_DEP_4) | instskip(SKIP_3) | instid1(VALU_DEP_3)
	v_lshlrev_b64_e32 v[19:20], 4, v[19:20]
	s_wait_alu 0xfffd
	v_add_co_ci_u32_e32 v18, vcc_lo, v67, v18, vcc_lo
	v_lshlrev_b64_e32 v[21:22], 4, v[21:22]
	v_add_co_u32 v25, vcc_lo, v66, v19
	s_wait_alu 0xfffd
	v_add_co_ci_u32_e32 v26, vcc_lo, v67, v20, vcc_lo
	s_delay_alu instid0(VALU_DEP_3) | instskip(SKIP_4) | instid1(VALU_DEP_2)
	v_add_co_u32 v27, vcc_lo, v66, v21
	s_wait_alu 0xfffd
	v_add_co_ci_u32_e32 v28, vcc_lo, v67, v22, vcc_lo
	v_dual_mov_b32 v22, v36 :: v_dual_mov_b32 v21, v34
	v_lshlrev_b64_e32 v[19:20], 4, v[23:24]
	v_mad_co_u64_u32 v[36:37], null, s17, v93, v[22:23]
	v_mov_b32_e32 v37, v42
	s_delay_alu instid0(VALU_DEP_4) | instskip(NEXT) | instid1(VALU_DEP_4)
	v_mad_co_u64_u32 v[31:32], null, s17, v94, v[21:22]
	v_add_co_u32 v29, vcc_lo, v66, v19
	s_delay_alu instid0(VALU_DEP_3)
	v_mad_co_u64_u32 v[39:40], null, s17, v92, v[37:38]
	v_lshlrev_b64_e32 v[35:36], 4, v[35:36]
	s_wait_alu 0xfffd
	v_add_co_ci_u32_e32 v30, vcc_lo, v67, v20, vcc_lo
	v_mov_b32_e32 v34, v31
	s_clause 0x3
	global_load_b128 v[17:20], v[17:18], off
	global_load_b128 v[21:24], v[25:26], off
	;; [unrolled: 1-line block ×4, first 2 shown]
	v_mad_co_u64_u32 v[37:38], null, s17, v91, v[38:39]
	v_lshlrev_b64_e32 v[33:34], 4, v[33:34]
	v_mov_b32_e32 v42, v39
	s_delay_alu instid0(VALU_DEP_3) | instskip(NEXT) | instid1(VALU_DEP_3)
	v_mov_b32_e32 v44, v37
	v_add_co_u32 v33, vcc_lo, v66, v33
	s_delay_alu instid0(VALU_DEP_3)
	v_lshlrev_b64_e32 v[41:42], 4, v[41:42]
	s_wait_alu 0xfffd
	v_add_co_ci_u32_e32 v34, vcc_lo, v67, v34, vcc_lo
	v_add_co_u32 v45, vcc_lo, v66, v35
	v_lshlrev_b64_e32 v[43:44], 4, v[43:44]
	s_wait_alu 0xfffd
	v_add_co_ci_u32_e32 v46, vcc_lo, v67, v36, vcc_lo
	v_add_co_u32 v41, vcc_lo, v66, v41
	s_clause 0x1
	global_load_b128 v[33:36], v[33:34], off
	global_load_b128 v[37:40], v[45:46], off
	v_mad_co_u64_u32 v[45:46], null, s17, v90, v[47:48]
	s_wait_alu 0xfffd
	v_add_co_ci_u32_e32 v42, vcc_lo, v67, v42, vcc_lo
	v_add_co_u32 v46, vcc_lo, v66, v43
	s_wait_alu 0xfffd
	v_add_co_ci_u32_e32 v47, vcc_lo, v67, v44, vcc_lo
	v_dual_mov_b32 v43, v52 :: v_dual_mov_b32 v44, v54
	v_mov_b32_e32 v50, v45
	s_delay_alu instid0(VALU_DEP_2) | instskip(SKIP_2) | instid1(VALU_DEP_4)
	v_mad_co_u64_u32 v[58:59], null, s17, v89, v[43:44]
	v_mad_co_u64_u32 v[59:60], null, s17, v88, v[44:45]
	;; [unrolled: 1-line block ×3, first 2 shown]
	v_lshlrev_b64_e32 v[49:50], 4, v[49:50]
	s_clause 0x1
	global_load_b128 v[41:44], v[41:42], off
	global_load_b128 v[45:48], v[46:47], off
	v_mov_b32_e32 v52, v58
	v_mov_b32_e32 v54, v59
	v_mad_co_u64_u32 v[58:59], null, s17, v87, v[56:57]
	v_mov_b32_e32 v56, v61
	s_delay_alu instid0(VALU_DEP_4) | instskip(SKIP_2) | instid1(VALU_DEP_4)
	v_lshlrev_b64_e32 v[51:52], 4, v[51:52]
	v_add_co_u32 v49, vcc_lo, v66, v49
	v_lshlrev_b64_e32 v[53:54], 4, v[53:54]
	v_mad_co_u64_u32 v[61:62], null, s17, v86, v[56:57]
	v_mov_b32_e32 v56, v58
	s_wait_alu 0xfffd
	v_add_co_ci_u32_e32 v50, vcc_lo, v67, v50, vcc_lo
	v_add_co_u32 v58, vcc_lo, v66, v51
	s_wait_alu 0xfffd
	v_add_co_ci_u32_e32 v59, vcc_lo, v67, v52, vcc_lo
	v_lshlrev_b64_e32 v[51:52], 4, v[55:56]
	v_add_co_u32 v62, vcc_lo, v66, v53
	s_wait_alu 0xfffd
	v_add_co_ci_u32_e32 v63, vcc_lo, v67, v54, vcc_lo
	v_lshlrev_b64_e32 v[53:54], 4, v[60:61]
	s_delay_alu instid0(VALU_DEP_4) | instskip(SKIP_2) | instid1(VALU_DEP_3)
	v_add_co_u32 v64, vcc_lo, v66, v51
	s_wait_alu 0xfffd
	v_add_co_ci_u32_e32 v65, vcc_lo, v67, v52, vcc_lo
	v_add_co_u32 v66, vcc_lo, v66, v53
	s_wait_alu 0xfffd
	v_add_co_ci_u32_e32 v67, vcc_lo, v67, v54, vcc_lo
	s_clause 0x4
	global_load_b128 v[49:52], v[49:50], off
	global_load_b128 v[53:56], v[58:59], off
	;; [unrolled: 1-line block ×5, first 2 shown]
	s_wait_loadcnt 0x10
	ds_store_b128 v70, v[1:4]
	s_wait_loadcnt 0xf
	ds_store_b128 v70, v[5:8] offset:272
	s_wait_loadcnt 0xe
	ds_store_b128 v70, v[9:12] offset:544
	;; [unrolled: 2-line block ×16, first 2 shown]
.LBB0_17:
	s_or_b32 exec_lo, exec_lo, s26
	v_mul_hi_u32 v5, 0xf0f0f10, v0
	s_mov_b32 s0, 0
	s_mov_b32 s8, 0x92481000
	s_movk_i32 s9, 0x64
	s_wait_alu 0xfffe
	s_mov_b32 s19, s0
	s_load_b64 s[6:7], s[6:7], 0x0
	global_wb scope:SCOPE_SE
	s_wait_dscnt 0x0
	s_wait_kmcnt 0x0
	s_barrier_signal -1
	v_add_co_u32 v107, s1, s24, v5
	s_wait_alu 0xf1ff
	v_add_co_ci_u32_e64 v6, null, s25, 0, s1
	s_mov_b32 s1, s0
	s_barrier_wait -1
	s_wait_alu 0xfffe
	s_add_nc_u64 s[8:9], s[0:1], s[8:9]
	global_inv scope:SCOPE_SE
	s_add_co_i32 s9, s9, 0x249248c0
	s_mov_b32 s30, 0x5d8e7cdc
	s_mul_u64 s[10:11], s[8:9], -7
	s_mov_b32 s46, 0x2a9d6da3
	s_mul_hi_u32 s17, s8, s11
	s_mul_i32 s16, s8, s11
	s_mul_hi_u32 s18, s8, s10
	s_mul_i32 s24, s9, s10
	s_wait_alu 0xfffe
	s_add_nc_u64 s[16:17], s[18:19], s[16:17]
	s_mul_hi_u32 s1, s9, s10
	s_mul_hi_u32 s18, s9, s11
	s_wait_alu 0xfffe
	s_add_co_u32 s10, s16, s24
	s_add_co_ci_u32 s10, s17, s1
	s_add_co_ci_u32 s17, s18, 0
	s_mul_i32 s16, s9, s11
	s_mov_b32 s11, s0
	s_mov_b32 s52, 0x7c9e640b
	s_wait_alu 0xfffe
	s_add_nc_u64 s[0:1], s[10:11], s[16:17]
	s_mov_b32 s42, 0xeb564b22
	s_wait_alu 0xfffe
	v_add_co_u32 v3, s0, s8, s0
	s_delay_alu instid0(VALU_DEP_1) | instskip(SKIP_2) | instid1(VALU_DEP_1)
	s_cmp_lg_u32 s0, 0
	s_mov_b32 s24, 0x923c349f
	s_add_co_ci_u32 s0, s9, s1
	v_mul_hi_u32 v4, v107, v3
	s_wait_alu 0xfffe
	v_mad_co_u64_u32 v[1:2], null, v107, s0, 0
	s_mov_b32 s28, 0x6c9a05f6
	s_mov_b32 s36, 0x4363dd80
	;; [unrolled: 1-line block ×6, first 2 shown]
	s_delay_alu instid0(VALU_DEP_1)
	v_add_co_u32 v7, vcc_lo, v4, v1
	v_mad_co_u64_u32 v[3:4], null, v6, v3, 0
	s_wait_alu 0xfffd
	v_add_co_ci_u32_e32 v8, vcc_lo, 0, v2, vcc_lo
	v_mad_co_u64_u32 v[1:2], null, v6, s0, 0
	s_mov_b32 s43, 0xbfefdd0d
	s_mov_b32 s25, 0xbfeec746
	s_delay_alu instid0(VALU_DEP_3) | instskip(SKIP_3) | instid1(VALU_DEP_3)
	v_add_co_u32 v3, vcc_lo, v7, v3
	s_wait_alu 0xfffd
	v_add_co_ci_u32_e32 v3, vcc_lo, v8, v4, vcc_lo
	s_wait_alu 0xfffd
	v_add_co_ci_u32_e32 v2, vcc_lo, 0, v2, vcc_lo
	s_mov_b32 s29, 0xbfe9895b
	s_delay_alu instid0(VALU_DEP_2) | instskip(SKIP_1) | instid1(VALU_DEP_2)
	v_add_co_u32 v1, vcc_lo, v3, v1
	s_wait_alu 0xfffd
	v_add_co_ci_u32_e32 v3, vcc_lo, 0, v2, vcc_lo
	s_mov_b32 s37, 0xbfe0d888
	s_delay_alu instid0(VALU_DEP_2)
	v_mad_co_u64_u32 v[1:2], null, v1, 7, 0
	s_mov_b32 s41, 0xbfc7851a
	s_mov_b32 s18, 0x370991
	;; [unrolled: 1-line block ×6, first 2 shown]
	s_delay_alu instid0(VALU_DEP_1)
	v_mad_co_u64_u32 v[2:3], null, v3, 7, v[2:3]
	v_sub_co_u32 v1, vcc_lo, v107, v1
	s_mov_b32 s34, 0x910ea3b9
	s_mov_b32 s38, 0x7faef3
	;; [unrolled: 1-line block ×4, first 2 shown]
	s_wait_alu 0xfffd
	s_delay_alu instid0(VALU_DEP_2) | instskip(SKIP_3) | instid1(VALU_DEP_2)
	v_sub_co_ci_u32_e32 v2, vcc_lo, v6, v2, vcc_lo
	v_sub_co_u32 v3, vcc_lo, v1, 7
	s_mov_b32 s9, 0x3fdc86fa
	s_wait_alu 0xfffd
	v_subrev_co_ci_u32_e32 v4, vcc_lo, 0, v2, vcc_lo
	s_delay_alu instid0(VALU_DEP_2) | instskip(SKIP_2) | instid1(VALU_DEP_2)
	v_cmp_lt_u32_e64 s0, 6, v3
	s_mov_b32 s17, 0xbfd183b1
	s_mov_b32 s27, 0xbfe348c8
	v_cmp_eq_u32_e32 vcc_lo, 0, v4
	s_mov_b32 s35, 0xbfeb34fa
	s_wait_alu 0xf1ff
	v_cndmask_b32_e64 v4, 0, -1, s0
	v_cmp_lt_u32_e64 s0, 6, v1
	s_mov_b32 s39, 0xbfef7484
	s_mov_b32 s59, 0x3fe0d888
	s_wait_alu 0xfffe
	s_mov_b32 s58, s36
	s_wait_alu 0xfffd
	v_cndmask_b32_e32 v4, -1, v4, vcc_lo
	s_mov_b32 s55, 0x3feec746
	s_mov_b32 s54, s24
	;; [unrolled: 1-line block ×4, first 2 shown]
	v_cmp_ne_u32_e32 vcc_lo, 0, v4
	v_add_nc_u32_e32 v4, -7, v3
	s_mov_b32 s49, 0x3fd71e95
	s_mov_b32 s48, s30
	;; [unrolled: 1-line block ×4, first 2 shown]
	s_wait_alu 0xfffd
	v_cndmask_b32_e32 v3, v3, v4, vcc_lo
	v_cmp_eq_u32_e32 vcc_lo, 0, v2
	v_cndmask_b32_e64 v2, 0, -1, s0
	s_mov_b32 s0, 0x3259b75e
	s_mov_b32 s1, 0x3fb79ee6
	;; [unrolled: 1-line block ×4, first 2 shown]
	s_wait_alu 0xfffd
	v_cndmask_b32_e32 v2, -1, v2, vcc_lo
	s_mov_b32 s61, 0x3fe9895b
	s_mov_b32 s60, s28
	s_mov_b32 s57, 0x3fefdd0d
	s_mov_b32 s56, s42
	v_cmp_ne_u32_e32 vcc_lo, 0, v2
	v_mul_u32_u24_e32 v2, 17, v5
	s_wait_alu 0xfffd
	v_cndmask_b32_e32 v1, v1, v3, vcc_lo
	s_delay_alu instid0(VALU_DEP_2) | instskip(NEXT) | instid1(VALU_DEP_2)
	v_sub_nc_u32_e32 v108, v0, v2
	v_mul_u32_u24_e32 v1, 0x121, v1
	s_delay_alu instid0(VALU_DEP_2) | instskip(NEXT) | instid1(VALU_DEP_2)
	v_lshlrev_b32_e32 v56, 4, v108
	v_lshlrev_b32_e32 v0, 4, v1
	s_delay_alu instid0(VALU_DEP_1) | instskip(NEXT) | instid1(VALU_DEP_3)
	v_add_nc_u32_e32 v110, 0, v0
	v_add3_u32 v106, 0, v56, v0
	s_delay_alu instid0(VALU_DEP_2)
	v_add_nc_u32_e32 v109, v110, v56
	v_lshlrev_b64_e32 v[56:57], 4, v[56:57]
	ds_load_b128 v[44:47], v109
	ds_load_b128 v[48:51], v106 offset:272
	ds_load_b128 v[52:55], v106 offset:544
	;; [unrolled: 1-line block ×16, first 2 shown]
	v_add_co_u32 v56, vcc_lo, s22, v56
	s_wait_alu 0xfffd
	v_add_co_ci_u32_e32 v57, vcc_lo, s23, v57, vcc_lo
	global_wb scope:SCOPE_SE
	s_wait_dscnt 0x0
	s_barrier_signal -1
	s_barrier_wait -1
	global_inv scope:SCOPE_SE
	v_add_f64_e32 v[0:1], v[44:45], v[48:49]
	v_add_f64_e32 v[2:3], v[46:47], v[50:51]
	;; [unrolled: 1-line block ×3, first 2 shown]
	v_add_f64_e64 v[50:51], v[50:51], -v[72:73]
	v_add_f64_e32 v[74:75], v[48:49], v[70:71]
	v_add_f64_e64 v[48:49], v[48:49], -v[70:71]
	v_add_f64_e32 v[0:1], v[0:1], v[52:53]
	v_add_f64_e32 v[2:3], v[2:3], v[54:55]
	v_mul_f64_e32 v[82:83], s[46:47], v[50:51]
	v_mul_f64_e32 v[115:116], s[52:53], v[50:51]
	;; [unrolled: 1-line block ×14, first 2 shown]
	v_add_f64_e32 v[0:1], v[0:1], v[58:59]
	v_add_f64_e32 v[2:3], v[2:3], v[60:61]
	v_fma_f64 v[84:85], v[74:75], s[10:11], -v[82:83]
	v_fma_f64 v[82:83], v[74:75], s[10:11], v[82:83]
	v_fma_f64 v[117:118], v[74:75], s[8:9], -v[115:116]
	v_fma_f64 v[115:116], v[74:75], s[8:9], v[115:116]
	s_wait_alu 0xfffe
	v_fma_f64 v[125:126], v[74:75], s[0:1], -v[123:124]
	v_fma_f64 v[123:124], v[74:75], s[0:1], v[123:124]
	v_fma_f64 v[133:134], v[74:75], s[16:17], -v[131:132]
	v_fma_f64 v[131:132], v[74:75], s[16:17], v[131:132]
	;; [unrolled: 2-line block ×4, first 2 shown]
	v_fma_f64 v[80:81], v[76:77], s[18:19], v[78:79]
	v_fma_f64 v[78:79], v[76:77], s[18:19], -v[78:79]
	v_fma_f64 v[113:114], v[76:77], s[10:11], v[111:112]
	v_fma_f64 v[111:112], v[76:77], s[10:11], -v[111:112]
	;; [unrolled: 2-line block ×8, first 2 shown]
	v_add_f64_e32 v[0:1], v[0:1], v[36:37]
	v_add_f64_e32 v[2:3], v[2:3], v[38:39]
	;; [unrolled: 1-line block ×31, first 2 shown]
	v_add_f64_e64 v[52:53], v[52:53], -v[66:67]
	v_add_f64_e32 v[0:1], v[0:1], v[28:29]
	v_add_f64_e32 v[2:3], v[2:3], v[30:31]
	s_delay_alu instid0(VALU_DEP_2) | instskip(NEXT) | instid1(VALU_DEP_2)
	v_add_f64_e32 v[0:1], v[0:1], v[20:21]
	v_add_f64_e32 v[2:3], v[2:3], v[22:23]
	s_delay_alu instid0(VALU_DEP_2) | instskip(NEXT) | instid1(VALU_DEP_2)
	;; [unrolled: 3-line block ×10, first 2 shown]
	v_add_f64_e32 v[0:1], v[0:1], v[66:67]
	v_add_f64_e32 v[2:3], v[2:3], v[68:69]
	s_delay_alu instid0(VALU_DEP_2) | instskip(SKIP_2) | instid1(VALU_DEP_4)
	v_add_f64_e32 v[0:1], v[0:1], v[70:71]
	v_mul_f64_e32 v[70:71], s[30:31], v[50:51]
	v_mul_f64_e32 v[50:51], s[40:41], v[50:51]
	v_add_f64_e32 v[2:3], v[2:3], v[72:73]
	s_delay_alu instid0(VALU_DEP_3) | instskip(SKIP_1) | instid1(VALU_DEP_4)
	v_fma_f64 v[72:73], v[74:75], s[18:19], -v[70:71]
	v_fma_f64 v[70:71], v[74:75], s[18:19], v[70:71]
	v_fma_f64 v[155:156], v[74:75], s[38:39], -v[50:51]
	v_fma_f64 v[50:51], v[74:75], s[38:39], v[50:51]
	s_delay_alu instid0(VALU_DEP_4) | instskip(NEXT) | instid1(VALU_DEP_4)
	v_add_f64_e32 v[72:73], v[44:45], v[72:73]
	v_add_f64_e32 v[70:71], v[44:45], v[70:71]
	s_delay_alu instid0(VALU_DEP_4) | instskip(NEXT) | instid1(VALU_DEP_4)
	v_add_f64_e32 v[155:156], v[44:45], v[155:156]
	v_add_f64_e32 v[44:45], v[44:45], v[50:51]
	;; [unrolled: 1-line block ×3, first 2 shown]
	v_add_f64_e64 v[54:55], v[54:55], -v[68:69]
	s_delay_alu instid0(VALU_DEP_1) | instskip(NEXT) | instid1(VALU_DEP_1)
	v_mul_f64_e32 v[66:67], s[46:47], v[54:55]
	v_fma_f64 v[68:69], v[48:49], s[10:11], -v[66:67]
	v_fma_f64 v[66:67], v[48:49], s[10:11], v[66:67]
	s_delay_alu instid0(VALU_DEP_2) | instskip(SKIP_1) | instid1(VALU_DEP_3)
	v_add_f64_e32 v[68:69], v[68:69], v[72:73]
	v_mul_f64_e32 v[72:73], s[46:47], v[52:53]
	v_add_f64_e32 v[66:67], v[66:67], v[70:71]
	s_delay_alu instid0(VALU_DEP_2) | instskip(SKIP_2) | instid1(VALU_DEP_3)
	v_fma_f64 v[74:75], v[50:51], s[10:11], v[72:73]
	v_fma_f64 v[70:71], v[50:51], s[10:11], -v[72:73]
	v_mul_f64_e32 v[72:73], s[42:43], v[54:55]
	v_add_f64_e32 v[74:75], v[74:75], v[80:81]
	s_delay_alu instid0(VALU_DEP_3) | instskip(NEXT) | instid1(VALU_DEP_3)
	v_add_f64_e32 v[70:71], v[70:71], v[78:79]
	v_fma_f64 v[76:77], v[48:49], s[0:1], -v[72:73]
	v_fma_f64 v[72:73], v[48:49], s[0:1], v[72:73]
	v_mul_f64_e32 v[78:79], s[42:43], v[52:53]
	s_delay_alu instid0(VALU_DEP_3) | instskip(NEXT) | instid1(VALU_DEP_3)
	v_add_f64_e32 v[76:77], v[76:77], v[84:85]
	v_add_f64_e32 v[72:73], v[72:73], v[82:83]
	v_mul_f64_e32 v[82:83], s[28:29], v[54:55]
	s_delay_alu instid0(VALU_DEP_4) | instskip(SKIP_1) | instid1(VALU_DEP_3)
	v_fma_f64 v[80:81], v[50:51], s[0:1], v[78:79]
	v_fma_f64 v[78:79], v[50:51], s[0:1], -v[78:79]
	v_fma_f64 v[84:85], v[48:49], s[26:27], -v[82:83]
	v_fma_f64 v[82:83], v[48:49], s[26:27], v[82:83]
	s_delay_alu instid0(VALU_DEP_3)
	v_add_f64_e32 v[78:79], v[78:79], v[111:112]
	v_mul_f64_e32 v[111:112], s[28:29], v[52:53]
	v_add_f64_e32 v[80:81], v[80:81], v[113:114]
	v_add_f64_e32 v[84:85], v[84:85], v[117:118]
	v_add_f64_e32 v[82:83], v[82:83], v[115:116]
	v_mul_f64_e32 v[115:116], s[40:41], v[54:55]
	v_fma_f64 v[113:114], v[50:51], s[26:27], v[111:112]
	v_fma_f64 v[111:112], v[50:51], s[26:27], -v[111:112]
	s_delay_alu instid0(VALU_DEP_3) | instskip(SKIP_1) | instid1(VALU_DEP_3)
	v_fma_f64 v[117:118], v[48:49], s[38:39], -v[115:116]
	v_fma_f64 v[115:116], v[48:49], s[38:39], v[115:116]
	v_add_f64_e32 v[111:112], v[111:112], v[119:120]
	v_mul_f64_e32 v[119:120], s[40:41], v[52:53]
	v_add_f64_e32 v[113:114], v[113:114], v[121:122]
	v_add_f64_e32 v[117:118], v[117:118], v[125:126]
	v_add_f64_e32 v[115:116], v[115:116], v[123:124]
	v_mul_f64_e32 v[123:124], s[58:59], v[54:55]
	v_fma_f64 v[121:122], v[50:51], s[38:39], v[119:120]
	v_fma_f64 v[119:120], v[50:51], s[38:39], -v[119:120]
	s_delay_alu instid0(VALU_DEP_3) | instskip(SKIP_1) | instid1(VALU_DEP_3)
	v_fma_f64 v[125:126], v[48:49], s[34:35], -v[123:124]
	v_fma_f64 v[123:124], v[48:49], s[34:35], v[123:124]
	;; [unrolled: 11-line block ×3, first 2 shown]
	v_add_f64_e32 v[127:128], v[127:128], v[135:136]
	v_mul_f64_e32 v[135:136], s[54:55], v[52:53]
	v_add_f64_e32 v[129:130], v[129:130], v[137:138]
	v_add_f64_e32 v[133:134], v[133:134], v[141:142]
	;; [unrolled: 1-line block ×3, first 2 shown]
	v_mul_f64_e32 v[139:140], s[44:45], v[54:55]
	v_fma_f64 v[137:138], v[50:51], s[16:17], v[135:136]
	v_fma_f64 v[135:136], v[50:51], s[16:17], -v[135:136]
	v_mul_f64_e32 v[54:55], s[48:49], v[54:55]
	s_delay_alu instid0(VALU_DEP_4) | instskip(SKIP_1) | instid1(VALU_DEP_4)
	v_fma_f64 v[141:142], v[48:49], s[8:9], -v[139:140]
	v_fma_f64 v[139:140], v[48:49], s[8:9], v[139:140]
	v_add_f64_e32 v[135:136], v[135:136], v[143:144]
	v_mul_f64_e32 v[143:144], s[44:45], v[52:53]
	v_mul_f64_e32 v[52:53], s[48:49], v[52:53]
	v_add_f64_e32 v[137:138], v[137:138], v[145:146]
	v_add_f64_e32 v[141:142], v[141:142], v[149:150]
	v_add_f64_e32 v[139:140], v[139:140], v[147:148]
	v_fma_f64 v[147:148], v[48:49], s[18:19], -v[54:55]
	v_fma_f64 v[48:49], v[48:49], s[18:19], v[54:55]
	v_add_f64_e64 v[54:55], v[60:61], -v[64:65]
	v_fma_f64 v[149:150], v[50:51], s[18:19], v[52:53]
	v_fma_f64 v[145:146], v[50:51], s[8:9], v[143:144]
	v_fma_f64 v[143:144], v[50:51], s[8:9], -v[143:144]
	v_add_f64_e32 v[147:148], v[147:148], v[155:156]
	v_add_f64_e32 v[44:45], v[48:49], v[44:45]
	v_fma_f64 v[48:49], v[50:51], s[18:19], -v[52:53]
	v_add_f64_e64 v[52:53], v[58:59], -v[62:63]
	v_add_f64_e32 v[50:51], v[60:61], v[64:65]
	v_add_f64_e32 v[145:146], v[145:146], v[153:154]
	;; [unrolled: 1-line block ×6, first 2 shown]
	v_mul_f64_e32 v[58:59], s[52:53], v[54:55]
	v_mul_f64_e32 v[62:63], s[52:53], v[52:53]
	s_delay_alu instid0(VALU_DEP_2) | instskip(SKIP_1) | instid1(VALU_DEP_3)
	v_fma_f64 v[60:61], v[48:49], s[8:9], -v[58:59]
	v_fma_f64 v[58:59], v[48:49], s[8:9], v[58:59]
	v_fma_f64 v[64:65], v[50:51], s[8:9], v[62:63]
	v_fma_f64 v[62:63], v[50:51], s[8:9], -v[62:63]
	s_delay_alu instid0(VALU_DEP_4) | instskip(NEXT) | instid1(VALU_DEP_4)
	v_add_f64_e32 v[60:61], v[60:61], v[68:69]
	v_add_f64_e32 v[58:59], v[58:59], v[66:67]
	v_mul_f64_e32 v[66:67], s[28:29], v[54:55]
	s_delay_alu instid0(VALU_DEP_4) | instskip(SKIP_2) | instid1(VALU_DEP_4)
	v_add_f64_e32 v[62:63], v[62:63], v[70:71]
	v_mul_f64_e32 v[70:71], s[28:29], v[52:53]
	v_add_f64_e32 v[64:65], v[64:65], v[74:75]
	v_fma_f64 v[68:69], v[48:49], s[26:27], -v[66:67]
	v_fma_f64 v[66:67], v[48:49], s[26:27], v[66:67]
	s_delay_alu instid0(VALU_DEP_4) | instskip(SKIP_1) | instid1(VALU_DEP_4)
	v_fma_f64 v[74:75], v[50:51], s[26:27], v[70:71]
	v_fma_f64 v[70:71], v[50:51], s[26:27], -v[70:71]
	v_add_f64_e32 v[68:69], v[68:69], v[76:77]
	s_delay_alu instid0(VALU_DEP_4) | instskip(SKIP_1) | instid1(VALU_DEP_4)
	v_add_f64_e32 v[66:67], v[66:67], v[72:73]
	v_mul_f64_e32 v[72:73], s[62:63], v[54:55]
	v_add_f64_e32 v[70:71], v[70:71], v[78:79]
	v_mul_f64_e32 v[78:79], s[62:63], v[52:53]
	v_add_f64_e32 v[74:75], v[74:75], v[80:81]
	s_delay_alu instid0(VALU_DEP_4) | instskip(SKIP_1) | instid1(VALU_DEP_4)
	v_fma_f64 v[76:77], v[48:49], s[38:39], -v[72:73]
	v_fma_f64 v[72:73], v[48:49], s[38:39], v[72:73]
	v_fma_f64 v[80:81], v[50:51], s[38:39], v[78:79]
	v_fma_f64 v[78:79], v[50:51], s[38:39], -v[78:79]
	s_delay_alu instid0(VALU_DEP_4) | instskip(NEXT) | instid1(VALU_DEP_4)
	v_add_f64_e32 v[76:77], v[76:77], v[84:85]
	v_add_f64_e32 v[72:73], v[72:73], v[82:83]
	v_mul_f64_e32 v[82:83], s[54:55], v[54:55]
	s_delay_alu instid0(VALU_DEP_4) | instskip(SKIP_2) | instid1(VALU_DEP_4)
	v_add_f64_e32 v[78:79], v[78:79], v[111:112]
	v_mul_f64_e32 v[111:112], s[54:55], v[52:53]
	v_add_f64_e32 v[80:81], v[80:81], v[113:114]
	v_fma_f64 v[84:85], v[48:49], s[16:17], -v[82:83]
	v_fma_f64 v[82:83], v[48:49], s[16:17], v[82:83]
	s_delay_alu instid0(VALU_DEP_4) | instskip(SKIP_1) | instid1(VALU_DEP_4)
	v_fma_f64 v[113:114], v[50:51], s[16:17], v[111:112]
	v_fma_f64 v[111:112], v[50:51], s[16:17], -v[111:112]
	v_add_f64_e32 v[84:85], v[84:85], v[117:118]
	s_delay_alu instid0(VALU_DEP_4) | instskip(SKIP_1) | instid1(VALU_DEP_4)
	v_add_f64_e32 v[82:83], v[82:83], v[115:116]
	v_mul_f64_e32 v[115:116], s[50:51], v[54:55]
	v_add_f64_e32 v[111:112], v[111:112], v[119:120]
	v_mul_f64_e32 v[119:120], s[50:51], v[52:53]
	v_add_f64_e32 v[113:114], v[113:114], v[121:122]
	s_delay_alu instid0(VALU_DEP_4) | instskip(SKIP_1) | instid1(VALU_DEP_4)
	v_fma_f64 v[117:118], v[48:49], s[10:11], -v[115:116]
	v_fma_f64 v[115:116], v[48:49], s[10:11], v[115:116]
	v_fma_f64 v[121:122], v[50:51], s[10:11], v[119:120]
	v_fma_f64 v[119:120], v[50:51], s[10:11], -v[119:120]
	s_delay_alu instid0(VALU_DEP_4) | instskip(NEXT) | instid1(VALU_DEP_4)
	v_add_f64_e32 v[117:118], v[117:118], v[125:126]
	v_add_f64_e32 v[115:116], v[115:116], v[123:124]
	v_mul_f64_e32 v[123:124], s[30:31], v[54:55]
	s_delay_alu instid0(VALU_DEP_4) | instskip(SKIP_2) | instid1(VALU_DEP_4)
	v_add_f64_e32 v[119:120], v[119:120], v[127:128]
	v_mul_f64_e32 v[127:128], s[30:31], v[52:53]
	v_add_f64_e32 v[121:122], v[121:122], v[129:130]
	v_fma_f64 v[125:126], v[48:49], s[18:19], -v[123:124]
	v_fma_f64 v[123:124], v[48:49], s[18:19], v[123:124]
	s_delay_alu instid0(VALU_DEP_4) | instskip(SKIP_1) | instid1(VALU_DEP_4)
	v_fma_f64 v[129:130], v[50:51], s[18:19], v[127:128]
	v_fma_f64 v[127:128], v[50:51], s[18:19], -v[127:128]
	v_add_f64_e32 v[125:126], v[125:126], v[133:134]
	s_delay_alu instid0(VALU_DEP_4)
	v_add_f64_e32 v[123:124], v[123:124], v[131:132]
	v_mul_f64_e32 v[131:132], s[42:43], v[54:55]
	v_mul_f64_e32 v[54:55], s[36:37], v[54:55]
	v_add_f64_e32 v[127:128], v[127:128], v[135:136]
	v_mul_f64_e32 v[135:136], s[42:43], v[52:53]
	v_mul_f64_e32 v[52:53], s[36:37], v[52:53]
	v_add_f64_e32 v[129:130], v[129:130], v[137:138]
	v_fma_f64 v[133:134], v[48:49], s[0:1], -v[131:132]
	v_fma_f64 v[131:132], v[48:49], s[0:1], v[131:132]
	v_fma_f64 v[137:138], v[50:51], s[0:1], v[135:136]
	v_fma_f64 v[135:136], v[50:51], s[0:1], -v[135:136]
	s_delay_alu instid0(VALU_DEP_4) | instskip(NEXT) | instid1(VALU_DEP_4)
	v_add_f64_e32 v[133:134], v[133:134], v[141:142]
	v_add_f64_e32 v[131:132], v[131:132], v[139:140]
	v_fma_f64 v[139:140], v[48:49], s[34:35], -v[54:55]
	v_fma_f64 v[48:49], v[48:49], s[34:35], v[54:55]
	v_fma_f64 v[141:142], v[50:51], s[34:35], v[52:53]
	v_add_f64_e32 v[137:138], v[137:138], v[145:146]
	v_add_f64_e32 v[135:136], v[135:136], v[143:144]
	;; [unrolled: 1-line block ×4, first 2 shown]
	v_fma_f64 v[48:49], v[50:51], s[34:35], -v[52:53]
	v_add_f64_e32 v[50:51], v[38:39], v[42:43]
	v_add_f64_e64 v[38:39], v[38:39], -v[42:43]
	v_add_f64_e32 v[141:142], v[141:142], v[149:150]
	s_delay_alu instid0(VALU_DEP_4) | instskip(SKIP_3) | instid1(VALU_DEP_2)
	v_add_f64_e32 v[46:47], v[48:49], v[46:47]
	v_add_f64_e32 v[48:49], v[36:37], v[40:41]
	v_add_f64_e64 v[36:37], v[36:37], -v[40:41]
	v_mul_f64_e32 v[40:41], s[42:43], v[38:39]
	v_mul_f64_e32 v[52:53], s[42:43], v[36:37]
	s_delay_alu instid0(VALU_DEP_2) | instskip(SKIP_1) | instid1(VALU_DEP_3)
	v_fma_f64 v[42:43], v[48:49], s[0:1], -v[40:41]
	v_fma_f64 v[40:41], v[48:49], s[0:1], v[40:41]
	v_fma_f64 v[54:55], v[50:51], s[0:1], v[52:53]
	v_fma_f64 v[52:53], v[50:51], s[0:1], -v[52:53]
	s_delay_alu instid0(VALU_DEP_3)
	v_add_f64_e32 v[40:41], v[40:41], v[58:59]
	v_mul_f64_e32 v[58:59], s[40:41], v[38:39]
	v_add_f64_e32 v[42:43], v[42:43], v[60:61]
	v_add_f64_e32 v[54:55], v[54:55], v[64:65]
	v_add_f64_e32 v[52:53], v[52:53], v[62:63]
	v_mul_f64_e32 v[62:63], s[40:41], v[36:37]
	v_fma_f64 v[60:61], v[48:49], s[38:39], -v[58:59]
	v_fma_f64 v[58:59], v[48:49], s[38:39], v[58:59]
	s_delay_alu instid0(VALU_DEP_3) | instskip(SKIP_1) | instid1(VALU_DEP_3)
	v_fma_f64 v[64:65], v[50:51], s[38:39], v[62:63]
	v_fma_f64 v[62:63], v[50:51], s[38:39], -v[62:63]
	v_add_f64_e32 v[58:59], v[58:59], v[66:67]
	v_mul_f64_e32 v[66:67], s[54:55], v[38:39]
	v_add_f64_e32 v[60:61], v[60:61], v[68:69]
	v_add_f64_e32 v[64:65], v[64:65], v[74:75]
	v_add_f64_e32 v[62:63], v[62:63], v[70:71]
	v_mul_f64_e32 v[70:71], s[54:55], v[36:37]
	v_fma_f64 v[68:69], v[48:49], s[16:17], -v[66:67]
	v_fma_f64 v[66:67], v[48:49], s[16:17], v[66:67]
	s_delay_alu instid0(VALU_DEP_3) | instskip(SKIP_1) | instid1(VALU_DEP_3)
	v_fma_f64 v[74:75], v[50:51], s[16:17], v[70:71]
	v_fma_f64 v[70:71], v[50:51], s[16:17], -v[70:71]
	;; [unrolled: 11-line block ×5, first 2 shown]
	v_add_f64_e32 v[115:116], v[115:116], v[123:124]
	v_mul_f64_e32 v[123:124], s[60:61], v[38:39]
	v_add_f64_e32 v[117:118], v[117:118], v[125:126]
	v_mul_f64_e32 v[38:39], s[50:51], v[38:39]
	v_add_f64_e32 v[121:122], v[121:122], v[129:130]
	v_add_f64_e32 v[119:120], v[119:120], v[127:128]
	v_mul_f64_e32 v[127:128], s[60:61], v[36:37]
	v_fma_f64 v[125:126], v[48:49], s[26:27], -v[123:124]
	v_mul_f64_e32 v[36:37], s[50:51], v[36:37]
	v_fma_f64 v[123:124], v[48:49], s[26:27], v[123:124]
	s_delay_alu instid0(VALU_DEP_4) | instskip(NEXT) | instid1(VALU_DEP_4)
	v_fma_f64 v[129:130], v[50:51], s[26:27], v[127:128]
	v_add_f64_e32 v[125:126], v[125:126], v[133:134]
	s_delay_alu instid0(VALU_DEP_4)
	v_fma_f64 v[133:134], v[50:51], s[10:11], v[36:37]
	v_fma_f64 v[36:37], v[50:51], s[10:11], -v[36:37]
	v_add_f64_e32 v[123:124], v[123:124], v[131:132]
	v_fma_f64 v[131:132], v[48:49], s[10:11], -v[38:39]
	v_fma_f64 v[38:39], v[48:49], s[10:11], v[38:39]
	v_fma_f64 v[127:128], v[50:51], s[26:27], -v[127:128]
	v_add_f64_e32 v[129:130], v[129:130], v[137:138]
	v_add_f64_e64 v[137:138], v[14:15], -v[18:19]
	v_add_f64_e32 v[133:134], v[133:134], v[141:142]
	v_add_f64_e32 v[36:37], v[36:37], v[46:47]
	;; [unrolled: 1-line block ×3, first 2 shown]
	v_add_f64_e64 v[30:31], v[30:31], -v[34:35]
	v_add_f64_e32 v[38:39], v[38:39], v[44:45]
	v_add_f64_e32 v[44:45], v[28:29], v[32:33]
	v_add_f64_e64 v[28:29], v[28:29], -v[32:33]
	v_add_f64_e32 v[131:132], v[131:132], v[139:140]
	v_add_f64_e32 v[127:128], v[127:128], v[135:136]
	v_add_f64_e64 v[135:136], v[12:13], -v[16:17]
	v_mul_f64_e32 v[32:33], s[24:25], v[30:31]
	s_delay_alu instid0(VALU_DEP_1) | instskip(SKIP_1) | instid1(VALU_DEP_2)
	v_fma_f64 v[34:35], v[44:45], s[16:17], -v[32:33]
	v_fma_f64 v[32:33], v[44:45], s[16:17], v[32:33]
	v_add_f64_e32 v[34:35], v[34:35], v[42:43]
	v_mul_f64_e32 v[42:43], s[24:25], v[28:29]
	s_delay_alu instid0(VALU_DEP_3) | instskip(NEXT) | instid1(VALU_DEP_2)
	v_add_f64_e32 v[32:33], v[32:33], v[40:41]
	v_fma_f64 v[48:49], v[46:47], s[16:17], v[42:43]
	v_fma_f64 v[40:41], v[46:47], s[16:17], -v[42:43]
	v_mul_f64_e32 v[42:43], s[58:59], v[30:31]
	s_delay_alu instid0(VALU_DEP_3) | instskip(NEXT) | instid1(VALU_DEP_3)
	v_add_f64_e32 v[48:49], v[48:49], v[54:55]
	v_add_f64_e32 v[40:41], v[40:41], v[52:53]
	s_delay_alu instid0(VALU_DEP_3) | instskip(SKIP_2) | instid1(VALU_DEP_3)
	v_fma_f64 v[50:51], v[44:45], s[34:35], -v[42:43]
	v_fma_f64 v[42:43], v[44:45], s[34:35], v[42:43]
	v_mul_f64_e32 v[52:53], s[58:59], v[28:29]
	v_add_f64_e32 v[50:51], v[50:51], v[60:61]
	s_delay_alu instid0(VALU_DEP_3) | instskip(SKIP_1) | instid1(VALU_DEP_4)
	v_add_f64_e32 v[42:43], v[42:43], v[58:59]
	v_mul_f64_e32 v[58:59], s[50:51], v[30:31]
	v_fma_f64 v[54:55], v[46:47], s[34:35], v[52:53]
	v_fma_f64 v[52:53], v[46:47], s[34:35], -v[52:53]
	s_delay_alu instid0(VALU_DEP_3) | instskip(SKIP_1) | instid1(VALU_DEP_3)
	v_fma_f64 v[60:61], v[44:45], s[10:11], -v[58:59]
	v_fma_f64 v[58:59], v[44:45], s[10:11], v[58:59]
	v_add_f64_e32 v[52:53], v[52:53], v[62:63]
	v_mul_f64_e32 v[62:63], s[50:51], v[28:29]
	v_add_f64_e32 v[54:55], v[54:55], v[64:65]
	v_add_f64_e32 v[60:61], v[60:61], v[68:69]
	v_add_f64_e32 v[58:59], v[58:59], v[66:67]
	v_mul_f64_e32 v[66:67], s[52:53], v[30:31]
	v_fma_f64 v[64:65], v[46:47], s[10:11], v[62:63]
	v_fma_f64 v[62:63], v[46:47], s[10:11], -v[62:63]
	s_delay_alu instid0(VALU_DEP_3) | instskip(SKIP_1) | instid1(VALU_DEP_3)
	v_fma_f64 v[68:69], v[44:45], s[8:9], -v[66:67]
	v_fma_f64 v[66:67], v[44:45], s[8:9], v[66:67]
	v_add_f64_e32 v[62:63], v[62:63], v[70:71]
	v_mul_f64_e32 v[70:71], s[52:53], v[28:29]
	v_add_f64_e32 v[64:65], v[64:65], v[74:75]
	v_add_f64_e32 v[68:69], v[68:69], v[76:77]
	;; [unrolled: 11-line block ×4, first 2 shown]
	v_add_f64_e32 v[82:83], v[82:83], v[115:116]
	v_mul_f64_e32 v[115:116], s[30:31], v[30:31]
	v_fma_f64 v[113:114], v[46:47], s[0:1], v[111:112]
	v_fma_f64 v[111:112], v[46:47], s[0:1], -v[111:112]
	v_mul_f64_e32 v[30:31], s[28:29], v[30:31]
	s_delay_alu instid0(VALU_DEP_4) | instskip(SKIP_1) | instid1(VALU_DEP_4)
	v_fma_f64 v[117:118], v[44:45], s[18:19], -v[115:116]
	v_fma_f64 v[115:116], v[44:45], s[18:19], v[115:116]
	v_add_f64_e32 v[111:112], v[111:112], v[119:120]
	v_mul_f64_e32 v[119:120], s[30:31], v[28:29]
	v_mul_f64_e32 v[28:29], s[28:29], v[28:29]
	v_add_f64_e32 v[113:114], v[113:114], v[121:122]
	v_add_f64_e32 v[117:118], v[117:118], v[125:126]
	;; [unrolled: 1-line block ×3, first 2 shown]
	v_fma_f64 v[123:124], v[44:45], s[26:27], -v[30:31]
	v_fma_f64 v[30:31], v[44:45], s[26:27], v[30:31]
	v_fma_f64 v[125:126], v[46:47], s[26:27], v[28:29]
	v_fma_f64 v[28:29], v[46:47], s[26:27], -v[28:29]
	v_fma_f64 v[121:122], v[46:47], s[18:19], v[119:120]
	v_fma_f64 v[119:120], v[46:47], s[18:19], -v[119:120]
	v_add_f64_e32 v[123:124], v[123:124], v[131:132]
	v_add_f64_e32 v[30:31], v[30:31], v[38:39]
	;; [unrolled: 1-line block ×3, first 2 shown]
	v_add_f64_e64 v[22:23], v[22:23], -v[26:27]
	v_add_f64_e32 v[28:29], v[28:29], v[36:37]
	v_add_f64_e32 v[36:37], v[20:21], v[24:25]
	v_add_f64_e64 v[20:21], v[20:21], -v[24:25]
	v_add_f64_e32 v[131:132], v[12:13], v[16:17]
	v_mul_f64_e32 v[12:13], s[36:37], v[137:138]
	v_add_f64_e32 v[119:120], v[119:120], v[127:128]
	v_add_f64_e32 v[125:126], v[125:126], v[133:134]
	;; [unrolled: 1-line block ×4, first 2 shown]
	v_mul_f64_e32 v[18:19], s[44:45], v[135:136]
	v_mul_f64_e32 v[24:25], s[28:29], v[22:23]
	;; [unrolled: 1-line block ×3, first 2 shown]
	v_fma_f64 v[14:15], v[131:132], s[34:35], -v[12:13]
	v_fma_f64 v[12:13], v[131:132], s[34:35], v[12:13]
	s_delay_alu instid0(VALU_DEP_4) | instskip(SKIP_1) | instid1(VALU_DEP_2)
	v_fma_f64 v[26:27], v[36:37], s[26:27], -v[24:25]
	v_fma_f64 v[24:25], v[36:37], s[26:27], v[24:25]
	v_add_f64_e32 v[26:27], v[26:27], v[34:35]
	v_mul_f64_e32 v[34:35], s[28:29], v[20:21]
	s_delay_alu instid0(VALU_DEP_3) | instskip(NEXT) | instid1(VALU_DEP_2)
	v_add_f64_e32 v[24:25], v[24:25], v[32:33]
	v_fma_f64 v[44:45], v[38:39], s[26:27], v[34:35]
	v_fma_f64 v[32:33], v[38:39], s[26:27], -v[34:35]
	v_mul_f64_e32 v[34:35], s[54:55], v[22:23]
	s_delay_alu instid0(VALU_DEP_3) | instskip(NEXT) | instid1(VALU_DEP_3)
	v_add_f64_e32 v[44:45], v[44:45], v[48:49]
	v_add_f64_e32 v[32:33], v[32:33], v[40:41]
	s_delay_alu instid0(VALU_DEP_3) | instskip(SKIP_2) | instid1(VALU_DEP_3)
	v_fma_f64 v[40:41], v[36:37], s[16:17], -v[34:35]
	v_fma_f64 v[34:35], v[36:37], s[16:17], v[34:35]
	v_fma_f64 v[48:49], v[38:39], s[16:17], v[46:47]
	v_add_f64_e32 v[40:41], v[40:41], v[50:51]
	s_delay_alu instid0(VALU_DEP_3) | instskip(SKIP_1) | instid1(VALU_DEP_4)
	v_add_f64_e32 v[34:35], v[34:35], v[42:43]
	v_fma_f64 v[42:43], v[38:39], s[16:17], -v[46:47]
	v_add_f64_e32 v[48:49], v[48:49], v[54:55]
	v_mul_f64_e32 v[46:47], s[30:31], v[22:23]
	s_delay_alu instid0(VALU_DEP_3) | instskip(SKIP_1) | instid1(VALU_DEP_3)
	v_add_f64_e32 v[42:43], v[42:43], v[52:53]
	v_mul_f64_e32 v[52:53], s[30:31], v[20:21]
	v_fma_f64 v[50:51], v[36:37], s[18:19], -v[46:47]
	v_fma_f64 v[46:47], v[36:37], s[18:19], v[46:47]
	s_delay_alu instid0(VALU_DEP_3) | instskip(SKIP_1) | instid1(VALU_DEP_3)
	v_fma_f64 v[54:55], v[38:39], s[18:19], v[52:53]
	v_fma_f64 v[52:53], v[38:39], s[18:19], -v[52:53]
	v_add_f64_e32 v[46:47], v[46:47], v[58:59]
	v_mul_f64_e32 v[58:59], s[36:37], v[22:23]
	v_add_f64_e32 v[50:51], v[50:51], v[60:61]
	v_add_f64_e32 v[54:55], v[54:55], v[64:65]
	;; [unrolled: 1-line block ×3, first 2 shown]
	v_mul_f64_e32 v[62:63], s[36:37], v[20:21]
	v_fma_f64 v[60:61], v[36:37], s[34:35], -v[58:59]
	v_fma_f64 v[58:59], v[36:37], s[34:35], v[58:59]
	s_delay_alu instid0(VALU_DEP_3) | instskip(SKIP_1) | instid1(VALU_DEP_3)
	v_fma_f64 v[64:65], v[38:39], s[34:35], v[62:63]
	v_fma_f64 v[62:63], v[38:39], s[34:35], -v[62:63]
	v_add_f64_e32 v[58:59], v[58:59], v[66:67]
	v_mul_f64_e32 v[66:67], s[56:57], v[22:23]
	v_add_f64_e32 v[60:61], v[60:61], v[68:69]
	v_add_f64_e32 v[64:65], v[64:65], v[74:75]
	;; [unrolled: 1-line block ×3, first 2 shown]
	v_mul_f64_e32 v[70:71], s[56:57], v[20:21]
	v_fma_f64 v[68:69], v[36:37], s[0:1], -v[66:67]
	v_fma_f64 v[66:67], v[36:37], s[0:1], v[66:67]
	s_delay_alu instid0(VALU_DEP_3) | instskip(SKIP_1) | instid1(VALU_DEP_3)
	v_fma_f64 v[74:75], v[38:39], s[0:1], v[70:71]
	v_fma_f64 v[70:71], v[38:39], s[0:1], -v[70:71]
	v_add_f64_e32 v[66:67], v[66:67], v[72:73]
	v_add_f64_e32 v[68:69], v[68:69], v[76:77]
	;; [unrolled: 1-line block ×3, first 2 shown]
	v_mul_f64_e32 v[14:15], s[36:37], v[135:136]
	v_mul_f64_e32 v[26:27], s[42:43], v[135:136]
	v_add_f64_e32 v[80:81], v[74:75], v[80:81]
	v_add_f64_e32 v[78:79], v[70:71], v[78:79]
	v_mul_f64_e32 v[70:71], s[46:47], v[22:23]
	v_fma_f64 v[16:17], v[133:134], s[34:35], v[14:15]
	s_delay_alu instid0(VALU_DEP_2) | instskip(SKIP_1) | instid1(VALU_DEP_2)
	v_fma_f64 v[72:73], v[36:37], s[10:11], -v[70:71]
	v_fma_f64 v[70:71], v[36:37], s[10:11], v[70:71]
	v_add_f64_e32 v[84:85], v[72:73], v[84:85]
	v_mul_f64_e32 v[72:73], s[46:47], v[20:21]
	s_delay_alu instid0(VALU_DEP_3) | instskip(NEXT) | instid1(VALU_DEP_2)
	v_add_f64_e32 v[82:83], v[70:71], v[82:83]
	v_fma_f64 v[70:71], v[38:39], s[10:11], -v[72:73]
	v_fma_f64 v[74:75], v[38:39], s[10:11], v[72:73]
	s_delay_alu instid0(VALU_DEP_2) | instskip(SKIP_2) | instid1(VALU_DEP_4)
	v_add_f64_e32 v[111:112], v[70:71], v[111:112]
	v_mul_f64_e32 v[70:71], s[40:41], v[22:23]
	v_mul_f64_e32 v[22:23], s[44:45], v[22:23]
	v_add_f64_e32 v[113:114], v[74:75], v[113:114]
	s_delay_alu instid0(VALU_DEP_3) | instskip(SKIP_1) | instid1(VALU_DEP_2)
	v_fma_f64 v[72:73], v[36:37], s[38:39], -v[70:71]
	v_fma_f64 v[70:71], v[36:37], s[38:39], v[70:71]
	v_add_f64_e32 v[117:118], v[72:73], v[117:118]
	v_mul_f64_e32 v[72:73], s[40:41], v[20:21]
	s_delay_alu instid0(VALU_DEP_3) | instskip(SKIP_1) | instid1(VALU_DEP_3)
	v_add_f64_e32 v[115:116], v[70:71], v[115:116]
	v_mul_f64_e32 v[20:21], s[44:45], v[20:21]
	v_fma_f64 v[70:71], v[38:39], s[38:39], -v[72:73]
	v_fma_f64 v[74:75], v[38:39], s[38:39], v[72:73]
	v_add_f64_e32 v[72:73], v[12:13], v[24:25]
	v_fma_f64 v[12:13], v[133:134], s[34:35], -v[14:15]
	v_fma_f64 v[14:15], v[133:134], s[8:9], v[18:19]
	v_fma_f64 v[18:19], v[133:134], s[8:9], -v[18:19]
	v_mul_f64_e32 v[24:25], s[42:43], v[137:138]
	v_add_f64_e32 v[119:120], v[70:71], v[119:120]
	v_fma_f64 v[70:71], v[36:37], s[8:9], -v[22:23]
	v_add_f64_e32 v[121:122], v[74:75], v[121:122]
	v_add_f64_e32 v[74:75], v[12:13], v[32:33]
	v_mul_f64_e32 v[32:33], s[60:61], v[137:138]
	v_fma_f64 v[22:23], v[36:37], s[8:9], v[22:23]
	v_add_f64_e32 v[14:15], v[14:15], v[48:49]
	v_add_f64_e32 v[18:19], v[18:19], v[42:43]
	v_mul_f64_e32 v[42:43], s[30:31], v[135:136]
	v_mul_f64_e32 v[48:49], s[40:41], v[137:138]
	v_add_f64_e32 v[123:124], v[70:71], v[123:124]
	v_fma_f64 v[70:71], v[38:39], s[8:9], v[20:21]
	v_fma_f64 v[20:21], v[38:39], s[8:9], -v[20:21]
	v_add_f64_e32 v[127:128], v[22:23], v[30:31]
	v_fma_f64 v[22:23], v[133:134], s[0:1], v[26:27]
	v_fma_f64 v[26:27], v[133:134], s[0:1], -v[26:27]
	v_fma_f64 v[38:39], v[133:134], s[18:19], v[42:43]
	v_fma_f64 v[42:43], v[133:134], s[18:19], -v[42:43]
	v_add_f64_e32 v[125:126], v[70:71], v[125:126]
	v_add_f64_e32 v[70:71], v[16:17], v[44:45]
	v_mul_f64_e32 v[16:17], s[44:45], v[137:138]
	v_add_f64_e32 v[129:130], v[20:21], v[28:29]
	v_fma_f64 v[28:29], v[131:132], s[26:27], -v[32:33]
	v_fma_f64 v[32:33], v[131:132], s[26:27], v[32:33]
	v_add_f64_e32 v[26:27], v[26:27], v[52:53]
	v_fma_f64 v[44:45], v[131:132], s[38:39], -v[48:49]
	v_add_f64_e32 v[22:23], v[22:23], v[54:55]
	v_add_f64_e32 v[42:43], v[42:43], v[78:79]
	v_fma_f64 v[48:49], v[131:132], s[38:39], v[48:49]
	v_mul_f64_e32 v[78:79], s[24:25], v[135:136]
	v_add_f64_e32 v[38:39], v[38:39], v[80:81]
	v_add_f64_e32 v[80:81], v[4:5], v[8:9]
	v_fma_f64 v[20:21], v[131:132], s[0:1], -v[24:25]
	v_fma_f64 v[24:25], v[131:132], s[0:1], v[24:25]
	v_fma_f64 v[12:13], v[131:132], s[8:9], -v[16:17]
	v_fma_f64 v[16:17], v[131:132], s[8:9], v[16:17]
	v_add_f64_e32 v[28:29], v[28:29], v[60:61]
	v_add_f64_e32 v[32:33], v[32:33], v[58:59]
	v_mul_f64_e32 v[58:59], s[50:51], v[137:138]
	v_mul_f64_e32 v[60:61], s[50:51], v[135:136]
	v_add_f64_e32 v[44:45], v[44:45], v[84:85]
	v_add_f64_e64 v[84:85], v[6:7], -v[10:11]
	v_add_f64_e32 v[48:49], v[48:49], v[82:83]
	v_add_f64_e64 v[82:83], v[4:5], -v[8:9]
	v_add_f64_e32 v[20:21], v[20:21], v[50:51]
	v_add_f64_e32 v[24:25], v[24:25], v[46:47]
	v_mul_f64_e32 v[50:51], s[40:41], v[135:136]
	v_add_f64_e32 v[12:13], v[12:13], v[40:41]
	v_mul_f64_e32 v[40:41], s[30:31], v[137:138]
	;; [unrolled: 2-line block ×3, first 2 shown]
	v_fma_f64 v[52:53], v[131:132], s[10:11], -v[58:59]
	v_fma_f64 v[58:59], v[131:132], s[10:11], v[58:59]
	v_fma_f64 v[54:55], v[133:134], s[10:11], v[60:61]
	v_mul_f64_e32 v[4:5], s[40:41], v[84:85]
	v_fma_f64 v[46:47], v[133:134], s[38:39], v[50:51]
	v_fma_f64 v[50:51], v[133:134], s[38:39], -v[50:51]
	v_fma_f64 v[36:37], v[131:132], s[18:19], -v[40:41]
	v_fma_f64 v[40:41], v[131:132], s[18:19], v[40:41]
	v_fma_f64 v[30:31], v[133:134], s[26:27], v[34:35]
	v_fma_f64 v[34:35], v[133:134], s[26:27], -v[34:35]
	v_add_f64_e32 v[52:53], v[52:53], v[117:118]
	v_add_f64_e32 v[54:55], v[54:55], v[121:122]
	;; [unrolled: 1-line block ×6, first 2 shown]
	v_fma_f64 v[58:59], v[133:134], s[10:11], -v[60:61]
	v_add_f64_e32 v[40:41], v[40:41], v[66:67]
	v_add_f64_e32 v[30:31], v[30:31], v[64:65]
	;; [unrolled: 1-line block ×3, first 2 shown]
	s_delay_alu instid0(VALU_DEP_4) | instskip(SKIP_1) | instid1(VALU_DEP_1)
	v_add_f64_e32 v[66:67], v[58:59], v[119:120]
	v_mul_f64_e32 v[58:59], s[24:25], v[137:138]
	v_fma_f64 v[60:61], v[131:132], s[16:17], -v[58:59]
	v_fma_f64 v[58:59], v[131:132], s[16:17], v[58:59]
	s_delay_alu instid0(VALU_DEP_2) | instskip(SKIP_1) | instid1(VALU_DEP_1)
	v_add_f64_e32 v[64:65], v[60:61], v[123:124]
	v_fma_f64 v[60:61], v[133:134], s[16:17], v[78:79]
	v_add_f64_e32 v[62:63], v[60:61], v[125:126]
	s_delay_alu instid0(VALU_DEP_4) | instskip(SKIP_4) | instid1(VALU_DEP_4)
	v_add_f64_e32 v[60:61], v[58:59], v[127:128]
	v_fma_f64 v[58:59], v[133:134], s[16:17], -v[78:79]
	v_add_f64_e32 v[78:79], v[6:7], v[10:11]
	v_fma_f64 v[6:7], v[80:81], s[38:39], -v[4:5]
	v_fma_f64 v[4:5], v[80:81], s[38:39], v[4:5]
	v_add_f64_e32 v[58:59], v[58:59], v[129:130]
	s_delay_alu instid0(VALU_DEP_3) | instskip(SKIP_1) | instid1(VALU_DEP_4)
	v_add_f64_e32 v[8:9], v[6:7], v[76:77]
	v_mul_f64_e32 v[6:7], s[40:41], v[82:83]
	v_add_f64_e32 v[4:5], v[4:5], v[72:73]
	s_delay_alu instid0(VALU_DEP_2) | instskip(SKIP_1) | instid1(VALU_DEP_2)
	v_fma_f64 v[10:11], v[78:79], s[38:39], v[6:7]
	v_fma_f64 v[6:7], v[78:79], s[38:39], -v[6:7]
	v_add_f64_e32 v[10:11], v[10:11], v[70:71]
	v_mul_f64_e32 v[70:71], s[48:49], v[84:85]
	s_delay_alu instid0(VALU_DEP_3) | instskip(NEXT) | instid1(VALU_DEP_2)
	v_add_f64_e32 v[6:7], v[6:7], v[74:75]
	v_fma_f64 v[72:73], v[80:81], s[18:19], -v[70:71]
	v_fma_f64 v[70:71], v[80:81], s[18:19], v[70:71]
	s_delay_alu instid0(VALU_DEP_2) | instskip(SKIP_1) | instid1(VALU_DEP_3)
	v_add_f64_e32 v[12:13], v[72:73], v[12:13]
	v_mul_f64_e32 v[72:73], s[48:49], v[82:83]
	v_add_f64_e32 v[16:17], v[70:71], v[16:17]
	s_delay_alu instid0(VALU_DEP_2) | instskip(SKIP_1) | instid1(VALU_DEP_2)
	v_fma_f64 v[70:71], v[78:79], s[18:19], -v[72:73]
	v_fma_f64 v[74:75], v[78:79], s[18:19], v[72:73]
	v_add_f64_e32 v[18:19], v[70:71], v[18:19]
	v_mul_f64_e32 v[70:71], s[36:37], v[84:85]
	s_delay_alu instid0(VALU_DEP_3) | instskip(NEXT) | instid1(VALU_DEP_2)
	v_add_f64_e32 v[14:15], v[74:75], v[14:15]
	v_fma_f64 v[72:73], v[80:81], s[34:35], -v[70:71]
	v_fma_f64 v[70:71], v[80:81], s[34:35], v[70:71]
	s_delay_alu instid0(VALU_DEP_2) | instskip(SKIP_1) | instid1(VALU_DEP_3)
	v_add_f64_e32 v[20:21], v[72:73], v[20:21]
	v_mul_f64_e32 v[72:73], s[36:37], v[82:83]
	v_add_f64_e32 v[24:25], v[70:71], v[24:25]
	s_delay_alu instid0(VALU_DEP_2) | instskip(SKIP_1) | instid1(VALU_DEP_2)
	v_fma_f64 v[70:71], v[78:79], s[34:35], -v[72:73]
	v_fma_f64 v[74:75], v[78:79], s[34:35], v[72:73]
	;; [unrolled: 13-line block ×5, first 2 shown]
	v_add_f64_e32 v[50:51], v[70:71], v[50:51]
	v_mul_f64_e32 v[70:71], s[24:25], v[84:85]
	s_delay_alu instid0(VALU_DEP_3) | instskip(NEXT) | instid1(VALU_DEP_2)
	v_add_f64_e32 v[46:47], v[74:75], v[46:47]
	v_fma_f64 v[72:73], v[80:81], s[16:17], -v[70:71]
	v_fma_f64 v[70:71], v[80:81], s[16:17], v[70:71]
	s_delay_alu instid0(VALU_DEP_2) | instskip(SKIP_1) | instid1(VALU_DEP_3)
	v_add_f64_e32 v[52:53], v[72:73], v[52:53]
	v_mul_f64_e32 v[72:73], s[24:25], v[82:83]
	v_add_f64_e32 v[68:69], v[70:71], v[68:69]
	s_delay_alu instid0(VALU_DEP_2) | instskip(SKIP_2) | instid1(VALU_DEP_3)
	v_fma_f64 v[74:75], v[78:79], s[16:17], v[72:73]
	v_fma_f64 v[70:71], v[78:79], s[16:17], -v[72:73]
	v_mul_f64_e32 v[72:73], s[56:57], v[84:85]
	v_add_f64_e32 v[54:55], v[74:75], v[54:55]
	s_delay_alu instid0(VALU_DEP_3) | instskip(NEXT) | instid1(VALU_DEP_3)
	v_add_f64_e32 v[70:71], v[70:71], v[66:67]
	v_fma_f64 v[66:67], v[80:81], s[0:1], -v[72:73]
	v_mul_f64_e32 v[74:75], s[56:57], v[82:83]
	s_delay_alu instid0(VALU_DEP_2) | instskip(NEXT) | instid1(VALU_DEP_2)
	v_add_f64_e32 v[64:65], v[66:67], v[64:65]
	v_fma_f64 v[66:67], v[78:79], s[0:1], v[74:75]
	s_delay_alu instid0(VALU_DEP_1) | instskip(SKIP_1) | instid1(VALU_DEP_1)
	v_add_f64_e32 v[66:67], v[66:67], v[62:63]
	v_fma_f64 v[62:63], v[80:81], s[0:1], v[72:73]
	v_add_f64_e32 v[60:61], v[62:63], v[60:61]
	v_fma_f64 v[62:63], v[78:79], s[0:1], -v[74:75]
	s_delay_alu instid0(VALU_DEP_1)
	v_add_f64_e32 v[62:63], v[62:63], v[58:59]
	v_mad_i32_i24 v58, 0x110, v108, v110
	ds_store_b128 v58, v[0:3]
	ds_store_b128 v58, v[8:11] offset:16
	ds_store_b128 v58, v[12:15] offset:32
	;; [unrolled: 1-line block ×16, first 2 shown]
	global_wb scope:SCOPE_SE
	s_wait_dscnt 0x0
	s_barrier_signal -1
	s_barrier_wait -1
	global_inv scope:SCOPE_SE
	ds_load_b128 v[20:23], v109
	ds_load_b128 v[0:3], v106 offset:272
	ds_load_b128 v[4:7], v106 offset:544
	;; [unrolled: 1-line block ×16, first 2 shown]
	s_clause 0x3
	global_load_b128 v[70:73], v[56:57], off offset:48
	global_load_b128 v[74:77], v[56:57], off offset:32
	global_load_b128 v[78:81], v[56:57], off offset:16
	global_load_b128 v[82:85], v[56:57], off
	s_wait_loadcnt_dscnt 0xf
	v_mul_f64_e32 v[109:110], v[2:3], v[84:85]
	s_delay_alu instid0(VALU_DEP_1) | instskip(SKIP_1) | instid1(VALU_DEP_1)
	v_fma_f64 v[109:110], v[0:1], v[82:83], -v[109:110]
	v_mul_f64_e32 v[0:1], v[0:1], v[84:85]
	v_fma_f64 v[82:83], v[2:3], v[82:83], v[0:1]
	s_wait_dscnt 0xe
	v_mul_f64_e32 v[0:1], v[6:7], v[80:81]
	s_delay_alu instid0(VALU_DEP_1) | instskip(SKIP_1) | instid1(VALU_DEP_1)
	v_fma_f64 v[84:85], v[4:5], v[78:79], -v[0:1]
	v_mul_f64_e32 v[0:1], v[4:5], v[80:81]
	v_fma_f64 v[78:79], v[6:7], v[78:79], v[0:1]
	s_wait_dscnt 0xd
	;; [unrolled: 6-line block ×3, first 2 shown]
	v_mul_f64_e32 v[0:1], v[14:15], v[72:73]
	s_delay_alu instid0(VALU_DEP_1) | instskip(SKIP_1) | instid1(VALU_DEP_1)
	v_fma_f64 v[76:77], v[12:13], v[70:71], -v[0:1]
	v_mul_f64_e32 v[0:1], v[12:13], v[72:73]
	v_fma_f64 v[111:112], v[14:15], v[70:71], v[0:1]
	s_clause 0x3
	global_load_b128 v[2:5], v[56:57], off offset:112
	global_load_b128 v[6:9], v[56:57], off offset:96
	;; [unrolled: 1-line block ×4, first 2 shown]
	s_wait_loadcnt_dscnt 0xb
	v_mul_f64_e32 v[0:1], v[18:19], v[72:73]
	s_delay_alu instid0(VALU_DEP_1) | instskip(SKIP_1) | instid1(VALU_DEP_1)
	v_fma_f64 v[113:114], v[16:17], v[70:71], -v[0:1]
	v_mul_f64_e32 v[0:1], v[16:17], v[72:73]
	v_fma_f64 v[70:71], v[18:19], v[70:71], v[0:1]
	s_wait_dscnt 0xa
	v_mul_f64_e32 v[0:1], v[26:27], v[12:13]
	s_delay_alu instid0(VALU_DEP_1) | instskip(SKIP_1) | instid1(VALU_DEP_1)
	v_fma_f64 v[72:73], v[24:25], v[10:11], -v[0:1]
	v_mul_f64_e32 v[0:1], v[24:25], v[12:13]
	v_fma_f64 v[115:116], v[26:27], v[10:11], v[0:1]
	s_wait_dscnt 0x9
	;; [unrolled: 6-line block ×3, first 2 shown]
	v_mul_f64_e32 v[0:1], v[34:35], v[4:5]
	v_mul_f64_e32 v[4:5], v[32:33], v[4:5]
	s_delay_alu instid0(VALU_DEP_2) | instskip(NEXT) | instid1(VALU_DEP_2)
	v_fma_f64 v[0:1], v[32:33], v[2:3], -v[0:1]
	v_fma_f64 v[6:7], v[34:35], v[2:3], v[4:5]
	s_clause 0x3
	global_load_b128 v[2:5], v[56:57], off offset:176
	global_load_b128 v[24:27], v[56:57], off offset:160
	;; [unrolled: 1-line block ×4, first 2 shown]
	s_wait_loadcnt_dscnt 0x7
	v_mul_f64_e32 v[8:9], v[38:39], v[18:19]
	v_mul_f64_e32 v[10:11], v[36:37], v[18:19]
	s_wait_dscnt 0x6
	v_mul_f64_e32 v[18:19], v[40:41], v[30:31]
	s_delay_alu instid0(VALU_DEP_3) | instskip(NEXT) | instid1(VALU_DEP_3)
	v_fma_f64 v[8:9], v[36:37], v[16:17], -v[8:9]
	v_fma_f64 v[10:11], v[38:39], v[16:17], v[10:11]
	v_mul_f64_e32 v[16:17], v[42:43], v[30:31]
	s_delay_alu instid0(VALU_DEP_4) | instskip(NEXT) | instid1(VALU_DEP_2)
	v_fma_f64 v[18:19], v[42:43], v[28:29], v[18:19]
	v_fma_f64 v[16:17], v[40:41], v[28:29], -v[16:17]
	s_wait_dscnt 0x5
	v_mul_f64_e32 v[28:29], v[46:47], v[26:27]
	v_mul_f64_e32 v[26:27], v[44:45], v[26:27]
	s_delay_alu instid0(VALU_DEP_2) | instskip(NEXT) | instid1(VALU_DEP_2)
	v_fma_f64 v[36:37], v[44:45], v[24:25], -v[28:29]
	v_fma_f64 v[38:39], v[46:47], v[24:25], v[26:27]
	s_wait_dscnt 0x4
	v_mul_f64_e32 v[24:25], v[50:51], v[4:5]
	v_mul_f64_e32 v[4:5], v[48:49], v[4:5]
	s_delay_alu instid0(VALU_DEP_2) | instskip(NEXT) | instid1(VALU_DEP_2)
	v_fma_f64 v[40:41], v[48:49], v[2:3], -v[24:25]
	v_fma_f64 v[42:43], v[50:51], v[2:3], v[4:5]
	s_clause 0x3
	global_load_b128 v[2:5], v[56:57], off offset:240
	global_load_b128 v[24:27], v[56:57], off offset:224
	;; [unrolled: 1-line block ×4, first 2 shown]
	s_wait_loadcnt_dscnt 0x3
	v_mul_f64_e32 v[44:45], v[54:55], v[34:35]
	v_mul_f64_e32 v[34:35], v[52:53], v[34:35]
	s_delay_alu instid0(VALU_DEP_2) | instskip(NEXT) | instid1(VALU_DEP_2)
	v_fma_f64 v[44:45], v[52:53], v[32:33], -v[44:45]
	v_fma_f64 v[32:33], v[54:55], v[32:33], v[34:35]
	s_wait_dscnt 0x2
	v_mul_f64_e32 v[34:35], v[60:61], v[30:31]
	v_mul_f64_e32 v[30:31], v[58:59], v[30:31]
	s_delay_alu instid0(VALU_DEP_2) | instskip(NEXT) | instid1(VALU_DEP_2)
	v_fma_f64 v[34:35], v[58:59], v[28:29], -v[34:35]
	v_fma_f64 v[28:29], v[60:61], v[28:29], v[30:31]
	s_wait_dscnt 0x1
	;; [unrolled: 6-line block ×3, first 2 shown]
	v_mul_f64_e32 v[26:27], v[68:69], v[4:5]
	v_mul_f64_e32 v[4:5], v[66:67], v[4:5]
	s_delay_alu instid0(VALU_DEP_2) | instskip(NEXT) | instid1(VALU_DEP_2)
	v_fma_f64 v[26:27], v[66:67], v[2:3], -v[26:27]
	v_fma_f64 v[46:47], v[68:69], v[2:3], v[4:5]
	v_add_f64_e32 v[4:5], v[22:23], v[82:83]
	v_add_f64_e32 v[2:3], v[20:21], v[109:110]
	s_delay_alu instid0(VALU_DEP_4) | instskip(NEXT) | instid1(VALU_DEP_4)
	v_add_f64_e32 v[48:49], v[109:110], v[26:27]
	v_add_f64_e32 v[50:51], v[82:83], v[46:47]
	s_delay_alu instid0(VALU_DEP_4) | instskip(NEXT) | instid1(VALU_DEP_4)
	v_add_f64_e32 v[4:5], v[4:5], v[78:79]
	v_add_f64_e32 v[2:3], v[2:3], v[84:85]
	s_delay_alu instid0(VALU_DEP_2) | instskip(NEXT) | instid1(VALU_DEP_2)
	v_add_f64_e32 v[4:5], v[4:5], v[74:75]
	v_add_f64_e32 v[2:3], v[2:3], v[80:81]
	s_delay_alu instid0(VALU_DEP_2) | instskip(NEXT) | instid1(VALU_DEP_2)
	;; [unrolled: 3-line block ×13, first 2 shown]
	v_add_f64_e32 v[4:5], v[4:5], v[24:25]
	v_add_f64_e32 v[2:3], v[2:3], v[30:31]
	s_delay_alu instid0(VALU_DEP_2) | instskip(SKIP_1) | instid1(VALU_DEP_3)
	v_add_f64_e32 v[4:5], v[4:5], v[46:47]
	v_add_f64_e64 v[46:47], v[82:83], -v[46:47]
	v_add_f64_e32 v[2:3], v[2:3], v[26:27]
	v_add_f64_e64 v[26:27], v[109:110], -v[26:27]
	s_delay_alu instid0(VALU_DEP_3)
	v_mul_f64_e32 v[52:53], s[30:31], v[46:47]
	v_mul_f64_e32 v[60:61], s[46:47], v[46:47]
	;; [unrolled: 1-line block ×16, first 2 shown]
	v_fma_f64 v[54:55], v[48:49], s[18:19], -v[52:53]
	v_fma_f64 v[52:53], v[48:49], s[18:19], v[52:53]
	v_fma_f64 v[62:63], v[48:49], s[10:11], -v[60:61]
	v_fma_f64 v[60:61], v[48:49], s[10:11], v[60:61]
	;; [unrolled: 2-line block ×8, first 2 shown]
	v_fma_f64 v[58:59], v[50:51], s[18:19], v[56:57]
	v_fma_f64 v[56:57], v[50:51], s[18:19], -v[56:57]
	v_fma_f64 v[66:67], v[50:51], s[10:11], v[64:65]
	v_fma_f64 v[64:65], v[50:51], s[10:11], -v[64:65]
	;; [unrolled: 2-line block ×8, first 2 shown]
	v_add_f64_e32 v[54:55], v[20:21], v[54:55]
	v_add_f64_e32 v[52:53], v[20:21], v[52:53]
	;; [unrolled: 1-line block ×17, first 2 shown]
	v_add_f64_e64 v[24:25], v[78:79], -v[24:25]
	v_add_f64_e32 v[58:59], v[22:23], v[58:59]
	v_add_f64_e32 v[56:57], v[22:23], v[56:57]
	;; [unrolled: 1-line block ×17, first 2 shown]
	v_add_f64_e64 v[30:31], v[84:85], -v[30:31]
	v_mul_f64_e32 v[48:49], s[46:47], v[24:25]
	s_delay_alu instid0(VALU_DEP_1) | instskip(SKIP_1) | instid1(VALU_DEP_2)
	v_fma_f64 v[50:51], v[26:27], s[10:11], -v[48:49]
	v_fma_f64 v[48:49], v[26:27], s[10:11], v[48:49]
	v_add_f64_e32 v[50:51], v[50:51], v[54:55]
	v_mul_f64_e32 v[54:55], s[46:47], v[30:31]
	s_delay_alu instid0(VALU_DEP_3) | instskip(NEXT) | instid1(VALU_DEP_2)
	v_add_f64_e32 v[48:49], v[48:49], v[52:53]
	v_fma_f64 v[78:79], v[46:47], s[10:11], v[54:55]
	v_fma_f64 v[52:53], v[46:47], s[10:11], -v[54:55]
	v_mul_f64_e32 v[54:55], s[42:43], v[24:25]
	s_delay_alu instid0(VALU_DEP_3) | instskip(NEXT) | instid1(VALU_DEP_3)
	v_add_f64_e32 v[58:59], v[78:79], v[58:59]
	v_add_f64_e32 v[52:53], v[52:53], v[56:57]
	s_delay_alu instid0(VALU_DEP_3) | instskip(SKIP_1) | instid1(VALU_DEP_2)
	v_fma_f64 v[56:57], v[26:27], s[0:1], -v[54:55]
	v_fma_f64 v[54:55], v[26:27], s[0:1], v[54:55]
	v_add_f64_e32 v[56:57], v[56:57], v[62:63]
	v_mul_f64_e32 v[62:63], s[42:43], v[30:31]
	s_delay_alu instid0(VALU_DEP_3) | instskip(NEXT) | instid1(VALU_DEP_2)
	v_add_f64_e32 v[54:55], v[54:55], v[60:61]
	v_fma_f64 v[78:79], v[46:47], s[0:1], v[62:63]
	v_fma_f64 v[60:61], v[46:47], s[0:1], -v[62:63]
	v_mul_f64_e32 v[62:63], s[28:29], v[24:25]
	s_delay_alu instid0(VALU_DEP_3) | instskip(NEXT) | instid1(VALU_DEP_3)
	v_add_f64_e32 v[66:67], v[78:79], v[66:67]
	v_add_f64_e32 v[60:61], v[60:61], v[64:65]
	s_delay_alu instid0(VALU_DEP_3) | instskip(SKIP_2) | instid1(VALU_DEP_3)
	v_fma_f64 v[64:65], v[26:27], s[26:27], -v[62:63]
	v_mul_f64_e32 v[78:79], s[28:29], v[30:31]
	v_fma_f64 v[62:63], v[26:27], s[26:27], v[62:63]
	v_add_f64_e32 v[64:65], v[64:65], v[82:83]
	s_delay_alu instid0(VALU_DEP_3) | instskip(NEXT) | instid1(VALU_DEP_3)
	v_fma_f64 v[82:83], v[46:47], s[26:27], v[78:79]
	v_add_f64_e32 v[62:63], v[62:63], v[68:69]
	v_fma_f64 v[68:69], v[46:47], s[26:27], -v[78:79]
	v_mul_f64_e32 v[78:79], s[40:41], v[24:25]
	s_delay_alu instid0(VALU_DEP_4) | instskip(NEXT) | instid1(VALU_DEP_3)
	v_add_f64_e32 v[82:83], v[82:83], v[117:118]
	v_add_f64_e32 v[68:69], v[68:69], v[109:110]
	s_delay_alu instid0(VALU_DEP_3) | instskip(SKIP_2) | instid1(VALU_DEP_3)
	v_fma_f64 v[84:85], v[26:27], s[38:39], -v[78:79]
	v_fma_f64 v[78:79], v[26:27], s[38:39], v[78:79]
	v_mul_f64_e32 v[109:110], s[40:41], v[30:31]
	v_add_f64_e32 v[84:85], v[84:85], v[121:122]
	s_delay_alu instid0(VALU_DEP_3) | instskip(SKIP_1) | instid1(VALU_DEP_4)
	v_add_f64_e32 v[78:79], v[78:79], v[119:120]
	v_mul_f64_e32 v[119:120], s[58:59], v[24:25]
	v_fma_f64 v[117:118], v[46:47], s[38:39], v[109:110]
	v_fma_f64 v[109:110], v[46:47], s[38:39], -v[109:110]
	s_delay_alu instid0(VALU_DEP_3) | instskip(SKIP_1) | instid1(VALU_DEP_3)
	v_fma_f64 v[121:122], v[26:27], s[34:35], -v[119:120]
	v_fma_f64 v[119:120], v[26:27], s[34:35], v[119:120]
	v_add_f64_e32 v[109:110], v[109:110], v[123:124]
	v_mul_f64_e32 v[123:124], s[58:59], v[30:31]
	v_add_f64_e32 v[117:118], v[117:118], v[125:126]
	v_add_f64_e32 v[121:122], v[121:122], v[129:130]
	;; [unrolled: 1-line block ×3, first 2 shown]
	v_mul_f64_e32 v[127:128], s[54:55], v[24:25]
	v_fma_f64 v[125:126], v[46:47], s[34:35], v[123:124]
	v_fma_f64 v[123:124], v[46:47], s[34:35], -v[123:124]
	s_delay_alu instid0(VALU_DEP_3) | instskip(SKIP_1) | instid1(VALU_DEP_3)
	v_fma_f64 v[129:130], v[26:27], s[16:17], -v[127:128]
	v_fma_f64 v[127:128], v[26:27], s[16:17], v[127:128]
	v_add_f64_e32 v[123:124], v[123:124], v[131:132]
	v_mul_f64_e32 v[131:132], s[54:55], v[30:31]
	v_add_f64_e32 v[125:126], v[125:126], v[133:134]
	v_add_f64_e32 v[129:130], v[129:130], v[137:138]
	;; [unrolled: 1-line block ×3, first 2 shown]
	v_mul_f64_e32 v[135:136], s[44:45], v[24:25]
	v_fma_f64 v[133:134], v[46:47], s[16:17], v[131:132]
	v_fma_f64 v[131:132], v[46:47], s[16:17], -v[131:132]
	v_mul_f64_e32 v[24:25], s[48:49], v[24:25]
	s_delay_alu instid0(VALU_DEP_4) | instskip(SKIP_1) | instid1(VALU_DEP_4)
	v_fma_f64 v[137:138], v[26:27], s[8:9], -v[135:136]
	v_fma_f64 v[135:136], v[26:27], s[8:9], v[135:136]
	v_add_f64_e32 v[131:132], v[131:132], v[139:140]
	v_mul_f64_e32 v[139:140], s[44:45], v[30:31]
	v_mul_f64_e32 v[30:31], s[48:49], v[30:31]
	v_add_f64_e32 v[133:134], v[133:134], v[141:142]
	v_add_f64_e32 v[137:138], v[137:138], v[145:146]
	;; [unrolled: 1-line block ×3, first 2 shown]
	v_fma_f64 v[143:144], v[26:27], s[18:19], -v[24:25]
	v_fma_f64 v[24:25], v[26:27], s[18:19], v[24:25]
	v_add_f64_e32 v[26:27], v[74:75], v[28:29]
	v_add_f64_e64 v[28:29], v[74:75], -v[28:29]
	v_fma_f64 v[145:146], v[46:47], s[18:19], v[30:31]
	v_fma_f64 v[141:142], v[46:47], s[8:9], v[139:140]
	v_fma_f64 v[139:140], v[46:47], s[8:9], -v[139:140]
	v_add_f64_e32 v[143:144], v[143:144], v[151:152]
	v_add_f64_e32 v[20:21], v[24:25], v[20:21]
	v_fma_f64 v[24:25], v[46:47], s[18:19], -v[30:31]
	v_add_f64_e64 v[30:31], v[80:81], -v[34:35]
	v_add_f64_e32 v[145:146], v[145:146], v[153:154]
	v_add_f64_e32 v[141:142], v[141:142], v[149:150]
	;; [unrolled: 1-line block ×5, first 2 shown]
	v_mul_f64_e32 v[34:35], s[52:53], v[28:29]
	v_mul_f64_e32 v[80:81], s[54:55], v[30:31]
	s_delay_alu instid0(VALU_DEP_2) | instskip(SKIP_1) | instid1(VALU_DEP_2)
	v_fma_f64 v[46:47], v[24:25], s[8:9], -v[34:35]
	v_fma_f64 v[34:35], v[24:25], s[8:9], v[34:35]
	v_add_f64_e32 v[46:47], v[46:47], v[50:51]
	v_mul_f64_e32 v[50:51], s[52:53], v[30:31]
	s_delay_alu instid0(VALU_DEP_3) | instskip(NEXT) | instid1(VALU_DEP_2)
	v_add_f64_e32 v[34:35], v[34:35], v[48:49]
	v_fma_f64 v[74:75], v[26:27], s[8:9], v[50:51]
	v_fma_f64 v[48:49], v[26:27], s[8:9], -v[50:51]
	v_mul_f64_e32 v[50:51], s[28:29], v[28:29]
	s_delay_alu instid0(VALU_DEP_3) | instskip(NEXT) | instid1(VALU_DEP_3)
	v_add_f64_e32 v[58:59], v[74:75], v[58:59]
	v_add_f64_e32 v[48:49], v[48:49], v[52:53]
	s_delay_alu instid0(VALU_DEP_3) | instskip(SKIP_1) | instid1(VALU_DEP_2)
	v_fma_f64 v[52:53], v[24:25], s[26:27], -v[50:51]
	v_fma_f64 v[50:51], v[24:25], s[26:27], v[50:51]
	v_add_f64_e32 v[52:53], v[52:53], v[56:57]
	v_mul_f64_e32 v[56:57], s[28:29], v[30:31]
	s_delay_alu instid0(VALU_DEP_3) | instskip(NEXT) | instid1(VALU_DEP_2)
	v_add_f64_e32 v[50:51], v[50:51], v[54:55]
	v_fma_f64 v[74:75], v[26:27], s[26:27], v[56:57]
	v_fma_f64 v[54:55], v[26:27], s[26:27], -v[56:57]
	v_mul_f64_e32 v[56:57], s[62:63], v[28:29]
	s_delay_alu instid0(VALU_DEP_3) | instskip(NEXT) | instid1(VALU_DEP_3)
	v_add_f64_e32 v[66:67], v[74:75], v[66:67]
	v_add_f64_e32 v[54:55], v[54:55], v[60:61]
	s_delay_alu instid0(VALU_DEP_3) | instskip(SKIP_1) | instid1(VALU_DEP_2)
	v_fma_f64 v[60:61], v[24:25], s[38:39], -v[56:57]
	v_fma_f64 v[56:57], v[24:25], s[38:39], v[56:57]
	v_add_f64_e32 v[60:61], v[60:61], v[64:65]
	v_mul_f64_e32 v[64:65], s[62:63], v[30:31]
	s_delay_alu instid0(VALU_DEP_3) | instskip(NEXT) | instid1(VALU_DEP_2)
	v_add_f64_e32 v[56:57], v[56:57], v[62:63]
	v_fma_f64 v[74:75], v[26:27], s[38:39], v[64:65]
	v_fma_f64 v[62:63], v[26:27], s[38:39], -v[64:65]
	v_mul_f64_e32 v[64:65], s[54:55], v[28:29]
	s_delay_alu instid0(VALU_DEP_3) | instskip(NEXT) | instid1(VALU_DEP_3)
	v_add_f64_e32 v[74:75], v[74:75], v[82:83]
	v_add_f64_e32 v[62:63], v[62:63], v[68:69]
	s_delay_alu instid0(VALU_DEP_3) | instskip(SKIP_2) | instid1(VALU_DEP_3)
	v_fma_f64 v[68:69], v[24:25], s[16:17], -v[64:65]
	v_fma_f64 v[64:65], v[24:25], s[16:17], v[64:65]
	v_fma_f64 v[82:83], v[26:27], s[16:17], v[80:81]
	v_add_f64_e32 v[68:69], v[68:69], v[84:85]
	s_delay_alu instid0(VALU_DEP_3) | instskip(SKIP_3) | instid1(VALU_DEP_3)
	v_add_f64_e32 v[64:65], v[64:65], v[78:79]
	v_fma_f64 v[78:79], v[26:27], s[16:17], -v[80:81]
	v_mul_f64_e32 v[80:81], s[50:51], v[28:29]
	v_add_f64_e32 v[82:83], v[82:83], v[117:118]
	v_add_f64_e32 v[78:79], v[78:79], v[109:110]
	s_delay_alu instid0(VALU_DEP_3) | instskip(SKIP_2) | instid1(VALU_DEP_3)
	v_fma_f64 v[84:85], v[24:25], s[10:11], -v[80:81]
	v_fma_f64 v[80:81], v[24:25], s[10:11], v[80:81]
	v_mul_f64_e32 v[109:110], s[50:51], v[30:31]
	v_add_f64_e32 v[84:85], v[84:85], v[121:122]
	s_delay_alu instid0(VALU_DEP_3) | instskip(SKIP_1) | instid1(VALU_DEP_4)
	v_add_f64_e32 v[80:81], v[80:81], v[119:120]
	v_mul_f64_e32 v[119:120], s[30:31], v[28:29]
	v_fma_f64 v[117:118], v[26:27], s[10:11], v[109:110]
	v_fma_f64 v[109:110], v[26:27], s[10:11], -v[109:110]
	s_delay_alu instid0(VALU_DEP_3) | instskip(SKIP_1) | instid1(VALU_DEP_3)
	v_fma_f64 v[121:122], v[24:25], s[18:19], -v[119:120]
	v_fma_f64 v[119:120], v[24:25], s[18:19], v[119:120]
	v_add_f64_e32 v[109:110], v[109:110], v[123:124]
	v_mul_f64_e32 v[123:124], s[30:31], v[30:31]
	v_add_f64_e32 v[117:118], v[117:118], v[125:126]
	v_add_f64_e32 v[121:122], v[121:122], v[129:130]
	;; [unrolled: 1-line block ×3, first 2 shown]
	v_mul_f64_e32 v[127:128], s[42:43], v[28:29]
	v_fma_f64 v[125:126], v[26:27], s[18:19], v[123:124]
	v_fma_f64 v[123:124], v[26:27], s[18:19], -v[123:124]
	v_mul_f64_e32 v[28:29], s[36:37], v[28:29]
	s_delay_alu instid0(VALU_DEP_4) | instskip(SKIP_1) | instid1(VALU_DEP_4)
	v_fma_f64 v[129:130], v[24:25], s[0:1], -v[127:128]
	v_fma_f64 v[127:128], v[24:25], s[0:1], v[127:128]
	v_add_f64_e32 v[123:124], v[123:124], v[131:132]
	v_mul_f64_e32 v[131:132], s[42:43], v[30:31]
	v_mul_f64_e32 v[30:31], s[36:37], v[30:31]
	v_add_f64_e32 v[125:126], v[125:126], v[133:134]
	v_add_f64_e32 v[129:130], v[129:130], v[137:138]
	;; [unrolled: 1-line block ×3, first 2 shown]
	v_fma_f64 v[135:136], v[24:25], s[34:35], -v[28:29]
	v_fma_f64 v[24:25], v[24:25], s[34:35], v[28:29]
	v_fma_f64 v[137:138], v[26:27], s[34:35], v[30:31]
	;; [unrolled: 1-line block ×3, first 2 shown]
	v_fma_f64 v[131:132], v[26:27], s[0:1], -v[131:132]
	v_add_f64_e64 v[28:29], v[76:77], -v[44:45]
	v_add_f64_e32 v[135:136], v[135:136], v[143:144]
	v_add_f64_e32 v[20:21], v[24:25], v[20:21]
	v_fma_f64 v[24:25], v[26:27], s[34:35], -v[30:31]
	v_add_f64_e64 v[30:31], v[111:112], -v[32:33]
	v_add_f64_e32 v[26:27], v[111:112], v[32:33]
	v_mul_f64_e32 v[111:112], s[36:37], v[28:29]
	v_add_f64_e32 v[131:132], v[131:132], v[139:140]
	v_add_f64_e32 v[133:134], v[133:134], v[141:142]
	;; [unrolled: 1-line block ×5, first 2 shown]
	v_mul_f64_e32 v[32:33], s[42:43], v[30:31]
	s_delay_alu instid0(VALU_DEP_1) | instskip(SKIP_1) | instid1(VALU_DEP_2)
	v_fma_f64 v[44:45], v[24:25], s[0:1], -v[32:33]
	v_fma_f64 v[32:33], v[24:25], s[0:1], v[32:33]
	v_add_f64_e32 v[44:45], v[44:45], v[46:47]
	v_mul_f64_e32 v[46:47], s[42:43], v[28:29]
	s_delay_alu instid0(VALU_DEP_3) | instskip(NEXT) | instid1(VALU_DEP_2)
	v_add_f64_e32 v[32:33], v[32:33], v[34:35]
	v_fma_f64 v[76:77], v[26:27], s[0:1], v[46:47]
	v_fma_f64 v[34:35], v[26:27], s[0:1], -v[46:47]
	v_mul_f64_e32 v[46:47], s[40:41], v[30:31]
	s_delay_alu instid0(VALU_DEP_3) | instskip(NEXT) | instid1(VALU_DEP_3)
	v_add_f64_e32 v[58:59], v[76:77], v[58:59]
	v_add_f64_e32 v[34:35], v[34:35], v[48:49]
	s_delay_alu instid0(VALU_DEP_3) | instskip(SKIP_1) | instid1(VALU_DEP_2)
	v_fma_f64 v[48:49], v[24:25], s[38:39], -v[46:47]
	v_fma_f64 v[46:47], v[24:25], s[38:39], v[46:47]
	v_add_f64_e32 v[48:49], v[48:49], v[52:53]
	v_mul_f64_e32 v[52:53], s[40:41], v[28:29]
	s_delay_alu instid0(VALU_DEP_3) | instskip(NEXT) | instid1(VALU_DEP_2)
	v_add_f64_e32 v[46:47], v[46:47], v[50:51]
	v_fma_f64 v[76:77], v[26:27], s[38:39], v[52:53]
	v_fma_f64 v[50:51], v[26:27], s[38:39], -v[52:53]
	v_mul_f64_e32 v[52:53], s[54:55], v[30:31]
	s_delay_alu instid0(VALU_DEP_3) | instskip(NEXT) | instid1(VALU_DEP_3)
	v_add_f64_e32 v[66:67], v[76:77], v[66:67]
	v_add_f64_e32 v[50:51], v[50:51], v[54:55]
	s_delay_alu instid0(VALU_DEP_3) | instskip(SKIP_1) | instid1(VALU_DEP_2)
	;; [unrolled: 13-line block ×3, first 2 shown]
	v_fma_f64 v[62:63], v[24:25], s[18:19], -v[60:61]
	v_fma_f64 v[60:61], v[24:25], s[18:19], v[60:61]
	v_add_f64_e32 v[62:63], v[62:63], v[68:69]
	v_mul_f64_e32 v[68:69], s[48:49], v[28:29]
	s_delay_alu instid0(VALU_DEP_3) | instskip(NEXT) | instid1(VALU_DEP_2)
	v_add_f64_e32 v[60:61], v[60:61], v[64:65]
	v_fma_f64 v[76:77], v[26:27], s[18:19], v[68:69]
	v_fma_f64 v[64:65], v[26:27], s[18:19], -v[68:69]
	v_mul_f64_e32 v[68:69], s[52:53], v[30:31]
	s_delay_alu instid0(VALU_DEP_3) | instskip(NEXT) | instid1(VALU_DEP_3)
	v_add_f64_e32 v[76:77], v[76:77], v[82:83]
	v_add_f64_e32 v[64:65], v[64:65], v[78:79]
	s_delay_alu instid0(VALU_DEP_3) | instskip(SKIP_2) | instid1(VALU_DEP_3)
	v_fma_f64 v[78:79], v[24:25], s[8:9], -v[68:69]
	v_mul_f64_e32 v[82:83], s[52:53], v[28:29]
	v_fma_f64 v[68:69], v[24:25], s[8:9], v[68:69]
	v_add_f64_e32 v[78:79], v[78:79], v[84:85]
	s_delay_alu instid0(VALU_DEP_3) | instskip(NEXT) | instid1(VALU_DEP_3)
	v_fma_f64 v[84:85], v[26:27], s[8:9], v[82:83]
	v_add_f64_e32 v[68:69], v[68:69], v[80:81]
	v_fma_f64 v[80:81], v[26:27], s[8:9], -v[82:83]
	v_mul_f64_e32 v[82:83], s[36:37], v[30:31]
	s_delay_alu instid0(VALU_DEP_4) | instskip(SKIP_1) | instid1(VALU_DEP_4)
	v_add_f64_e32 v[84:85], v[84:85], v[117:118]
	v_fma_f64 v[117:118], v[26:27], s[34:35], v[111:112]
	v_add_f64_e32 v[80:81], v[80:81], v[109:110]
	s_delay_alu instid0(VALU_DEP_4) | instskip(SKIP_3) | instid1(VALU_DEP_4)
	v_fma_f64 v[109:110], v[24:25], s[34:35], -v[82:83]
	v_fma_f64 v[82:83], v[24:25], s[34:35], v[82:83]
	v_fma_f64 v[111:112], v[26:27], s[34:35], -v[111:112]
	v_add_f64_e32 v[117:118], v[117:118], v[125:126]
	v_add_f64_e32 v[109:110], v[109:110], v[121:122]
	s_delay_alu instid0(VALU_DEP_4)
	v_add_f64_e32 v[82:83], v[82:83], v[119:120]
	v_mul_f64_e32 v[119:120], s[60:61], v[30:31]
	v_mul_f64_e32 v[30:31], s[50:51], v[30:31]
	v_add_f64_e32 v[111:112], v[111:112], v[123:124]
	v_mul_f64_e32 v[123:124], s[60:61], v[28:29]
	v_mul_f64_e32 v[28:29], s[50:51], v[28:29]
	v_fma_f64 v[121:122], v[24:25], s[26:27], -v[119:120]
	v_fma_f64 v[119:120], v[24:25], s[26:27], v[119:120]
	s_delay_alu instid0(VALU_DEP_4) | instskip(SKIP_1) | instid1(VALU_DEP_4)
	v_fma_f64 v[125:126], v[26:27], s[26:27], v[123:124]
	v_fma_f64 v[123:124], v[26:27], s[26:27], -v[123:124]
	v_add_f64_e32 v[121:122], v[121:122], v[129:130]
	s_delay_alu instid0(VALU_DEP_4)
	v_add_f64_e32 v[119:120], v[119:120], v[127:128]
	v_fma_f64 v[127:128], v[24:25], s[10:11], -v[30:31]
	v_fma_f64 v[24:25], v[24:25], s[10:11], v[30:31]
	v_add_f64_e64 v[30:31], v[70:71], -v[42:43]
	v_fma_f64 v[129:130], v[26:27], s[10:11], v[28:29]
	v_add_f64_e32 v[123:124], v[123:124], v[131:132]
	v_add_f64_e32 v[125:126], v[125:126], v[133:134]
	;; [unrolled: 1-line block ×4, first 2 shown]
	v_fma_f64 v[24:25], v[26:27], s[10:11], -v[28:29]
	v_add_f64_e64 v[28:29], v[113:114], -v[40:41]
	v_add_f64_e32 v[26:27], v[70:71], v[42:43]
	v_add_f64_e32 v[129:130], v[129:130], v[137:138]
	s_delay_alu instid0(VALU_DEP_4) | instskip(SKIP_3) | instid1(VALU_DEP_2)
	v_add_f64_e32 v[22:23], v[24:25], v[22:23]
	v_add_f64_e32 v[24:25], v[113:114], v[40:41]
	v_mul_f64_e32 v[40:41], s[24:25], v[30:31]
	v_mul_f64_e32 v[113:114], s[30:31], v[28:29]
	v_fma_f64 v[42:43], v[24:25], s[16:17], -v[40:41]
	v_fma_f64 v[40:41], v[24:25], s[16:17], v[40:41]
	s_delay_alu instid0(VALU_DEP_2) | instskip(SKIP_1) | instid1(VALU_DEP_3)
	v_add_f64_e32 v[42:43], v[42:43], v[44:45]
	v_mul_f64_e32 v[44:45], s[24:25], v[28:29]
	v_add_f64_e32 v[32:33], v[40:41], v[32:33]
	s_delay_alu instid0(VALU_DEP_2) | instskip(SKIP_1) | instid1(VALU_DEP_2)
	v_fma_f64 v[40:41], v[26:27], s[16:17], -v[44:45]
	v_fma_f64 v[70:71], v[26:27], s[16:17], v[44:45]
	v_add_f64_e32 v[34:35], v[40:41], v[34:35]
	v_mul_f64_e32 v[40:41], s[58:59], v[30:31]
	s_delay_alu instid0(VALU_DEP_3) | instskip(NEXT) | instid1(VALU_DEP_2)
	v_add_f64_e32 v[58:59], v[70:71], v[58:59]
	v_fma_f64 v[44:45], v[24:25], s[34:35], -v[40:41]
	v_fma_f64 v[40:41], v[24:25], s[34:35], v[40:41]
	s_delay_alu instid0(VALU_DEP_2) | instskip(SKIP_1) | instid1(VALU_DEP_3)
	v_add_f64_e32 v[44:45], v[44:45], v[48:49]
	v_mul_f64_e32 v[48:49], s[58:59], v[28:29]
	v_add_f64_e32 v[40:41], v[40:41], v[46:47]
	s_delay_alu instid0(VALU_DEP_2) | instskip(SKIP_2) | instid1(VALU_DEP_3)
	v_fma_f64 v[70:71], v[26:27], s[34:35], v[48:49]
	v_fma_f64 v[46:47], v[26:27], s[34:35], -v[48:49]
	v_mul_f64_e32 v[48:49], s[50:51], v[30:31]
	v_add_f64_e32 v[66:67], v[70:71], v[66:67]
	s_delay_alu instid0(VALU_DEP_3) | instskip(NEXT) | instid1(VALU_DEP_3)
	v_add_f64_e32 v[46:47], v[46:47], v[50:51]
	v_fma_f64 v[50:51], v[24:25], s[10:11], -v[48:49]
	v_fma_f64 v[48:49], v[24:25], s[10:11], v[48:49]
	s_delay_alu instid0(VALU_DEP_2) | instskip(SKIP_1) | instid1(VALU_DEP_3)
	v_add_f64_e32 v[50:51], v[50:51], v[54:55]
	v_mul_f64_e32 v[54:55], s[50:51], v[28:29]
	v_add_f64_e32 v[48:49], v[48:49], v[52:53]
	s_delay_alu instid0(VALU_DEP_2) | instskip(SKIP_2) | instid1(VALU_DEP_3)
	v_fma_f64 v[70:71], v[26:27], s[10:11], v[54:55]
	v_fma_f64 v[52:53], v[26:27], s[10:11], -v[54:55]
	v_mul_f64_e32 v[54:55], s[52:53], v[30:31]
	v_add_f64_e32 v[70:71], v[70:71], v[74:75]
	s_delay_alu instid0(VALU_DEP_3) | instskip(NEXT) | instid1(VALU_DEP_3)
	;; [unrolled: 13-line block ×3, first 2 shown]
	v_add_f64_e32 v[60:61], v[60:61], v[64:65]
	v_fma_f64 v[64:65], v[24:25], s[38:39], -v[62:63]
	v_mul_f64_e32 v[76:77], s[40:41], v[28:29]
	v_fma_f64 v[62:63], v[24:25], s[38:39], v[62:63]
	s_delay_alu instid0(VALU_DEP_3) | instskip(NEXT) | instid1(VALU_DEP_3)
	v_add_f64_e32 v[64:65], v[64:65], v[78:79]
	v_fma_f64 v[78:79], v[26:27], s[38:39], v[76:77]
	s_delay_alu instid0(VALU_DEP_3) | instskip(SKIP_2) | instid1(VALU_DEP_4)
	v_add_f64_e32 v[62:63], v[62:63], v[68:69]
	v_fma_f64 v[68:69], v[26:27], s[38:39], -v[76:77]
	v_mul_f64_e32 v[76:77], s[56:57], v[30:31]
	v_add_f64_e32 v[78:79], v[78:79], v[84:85]
	v_mul_f64_e32 v[84:85], s[56:57], v[28:29]
	s_delay_alu instid0(VALU_DEP_4) | instskip(NEXT) | instid1(VALU_DEP_4)
	v_add_f64_e32 v[68:69], v[68:69], v[80:81]
	v_fma_f64 v[80:81], v[24:25], s[0:1], -v[76:77]
	v_fma_f64 v[76:77], v[24:25], s[0:1], v[76:77]
	v_mul_f64_e32 v[28:29], s[28:29], v[28:29]
	s_delay_alu instid0(VALU_DEP_3) | instskip(SKIP_1) | instid1(VALU_DEP_4)
	v_add_f64_e32 v[80:81], v[80:81], v[109:110]
	v_fma_f64 v[109:110], v[26:27], s[0:1], v[84:85]
	v_add_f64_e32 v[76:77], v[76:77], v[82:83]
	v_fma_f64 v[82:83], v[26:27], s[0:1], -v[84:85]
	v_mul_f64_e32 v[84:85], s[30:31], v[30:31]
	v_mul_f64_e32 v[30:31], s[28:29], v[30:31]
	v_add_f64_e32 v[109:110], v[109:110], v[117:118]
	v_fma_f64 v[117:118], v[26:27], s[18:19], v[113:114]
	v_add_f64_e32 v[82:83], v[82:83], v[111:112]
	v_fma_f64 v[111:112], v[24:25], s[18:19], -v[84:85]
	v_fma_f64 v[84:85], v[24:25], s[18:19], v[84:85]
	v_fma_f64 v[113:114], v[26:27], s[18:19], -v[113:114]
	v_add_f64_e32 v[117:118], v[117:118], v[125:126]
	v_add_f64_e32 v[125:126], v[0:1], v[8:9]
	v_add_f64_e32 v[111:112], v[111:112], v[121:122]
	v_add_f64_e32 v[84:85], v[84:85], v[119:120]
	v_fma_f64 v[119:120], v[24:25], s[26:27], -v[30:31]
	v_fma_f64 v[24:25], v[24:25], s[26:27], v[30:31]
	v_add_f64_e64 v[30:31], v[115:116], -v[38:39]
	v_fma_f64 v[121:122], v[26:27], s[26:27], v[28:29]
	v_add_f64_e32 v[113:114], v[113:114], v[123:124]
	v_add_f64_e64 v[0:1], v[0:1], -v[8:9]
	v_add_f64_e32 v[119:120], v[119:120], v[127:128]
	v_add_f64_e32 v[20:21], v[24:25], v[20:21]
	v_fma_f64 v[24:25], v[26:27], s[26:27], -v[28:29]
	v_add_f64_e64 v[28:29], v[72:73], -v[36:37]
	v_add_f64_e32 v[26:27], v[115:116], v[38:39]
	v_add_f64_e32 v[121:122], v[121:122], v[129:130]
	v_add_f64_e64 v[129:130], v[6:7], -v[10:11]
	v_add_f64_e32 v[127:128], v[6:7], v[10:11]
	v_add_f64_e32 v[22:23], v[24:25], v[22:23]
	;; [unrolled: 1-line block ×3, first 2 shown]
	v_mul_f64_e32 v[36:37], s[28:29], v[30:31]
	v_mul_f64_e32 v[10:11], s[40:41], v[129:130]
	s_delay_alu instid0(VALU_DEP_2) | instskip(SKIP_1) | instid1(VALU_DEP_3)
	v_fma_f64 v[38:39], v[24:25], s[26:27], -v[36:37]
	v_fma_f64 v[36:37], v[24:25], s[26:27], v[36:37]
	v_fma_f64 v[6:7], v[125:126], s[38:39], -v[10:11]
	v_fma_f64 v[10:11], v[125:126], s[38:39], v[10:11]
	s_delay_alu instid0(VALU_DEP_4) | instskip(SKIP_2) | instid1(VALU_DEP_2)
	v_add_f64_e32 v[38:39], v[38:39], v[42:43]
	v_mul_f64_e32 v[42:43], s[28:29], v[28:29]
	v_add_f64_e32 v[32:33], v[36:37], v[32:33]
	v_fma_f64 v[36:37], v[26:27], s[26:27], -v[42:43]
	v_fma_f64 v[72:73], v[26:27], s[26:27], v[42:43]
	s_delay_alu instid0(VALU_DEP_2) | instskip(SKIP_1) | instid1(VALU_DEP_3)
	v_add_f64_e32 v[34:35], v[36:37], v[34:35]
	v_mul_f64_e32 v[36:37], s[54:55], v[30:31]
	v_add_f64_e32 v[58:59], v[72:73], v[58:59]
	s_delay_alu instid0(VALU_DEP_2) | instskip(SKIP_1) | instid1(VALU_DEP_2)
	v_fma_f64 v[42:43], v[24:25], s[16:17], -v[36:37]
	v_fma_f64 v[36:37], v[24:25], s[16:17], v[36:37]
	v_add_f64_e32 v[42:43], v[42:43], v[44:45]
	v_mul_f64_e32 v[44:45], s[54:55], v[28:29]
	s_delay_alu instid0(VALU_DEP_3) | instskip(NEXT) | instid1(VALU_DEP_2)
	v_add_f64_e32 v[36:37], v[36:37], v[40:41]
	v_fma_f64 v[72:73], v[26:27], s[16:17], v[44:45]
	v_fma_f64 v[40:41], v[26:27], s[16:17], -v[44:45]
	v_mul_f64_e32 v[44:45], s[30:31], v[30:31]
	s_delay_alu instid0(VALU_DEP_3) | instskip(NEXT) | instid1(VALU_DEP_3)
	v_add_f64_e32 v[66:67], v[72:73], v[66:67]
	v_add_f64_e32 v[40:41], v[40:41], v[46:47]
	s_delay_alu instid0(VALU_DEP_3) | instskip(SKIP_1) | instid1(VALU_DEP_2)
	v_fma_f64 v[46:47], v[24:25], s[18:19], -v[44:45]
	v_fma_f64 v[44:45], v[24:25], s[18:19], v[44:45]
	v_add_f64_e32 v[46:47], v[46:47], v[50:51]
	v_mul_f64_e32 v[50:51], s[30:31], v[28:29]
	s_delay_alu instid0(VALU_DEP_3) | instskip(NEXT) | instid1(VALU_DEP_2)
	v_add_f64_e32 v[44:45], v[44:45], v[48:49]
	v_fma_f64 v[72:73], v[26:27], s[18:19], v[50:51]
	v_fma_f64 v[48:49], v[26:27], s[18:19], -v[50:51]
	v_mul_f64_e32 v[50:51], s[36:37], v[30:31]
	s_delay_alu instid0(VALU_DEP_3) | instskip(NEXT) | instid1(VALU_DEP_3)
	v_add_f64_e32 v[70:71], v[72:73], v[70:71]
	v_add_f64_e32 v[48:49], v[48:49], v[52:53]
	s_delay_alu instid0(VALU_DEP_3) | instskip(SKIP_1) | instid1(VALU_DEP_2)
	;; [unrolled: 13-line block ×3, first 2 shown]
	v_fma_f64 v[60:61], v[24:25], s[0:1], -v[56:57]
	v_fma_f64 v[56:57], v[24:25], s[0:1], v[56:57]
	v_add_f64_e32 v[60:61], v[60:61], v[64:65]
	v_mul_f64_e32 v[64:65], s[56:57], v[28:29]
	s_delay_alu instid0(VALU_DEP_3) | instskip(NEXT) | instid1(VALU_DEP_2)
	v_add_f64_e32 v[56:57], v[56:57], v[62:63]
	v_fma_f64 v[74:75], v[26:27], s[0:1], v[64:65]
	v_fma_f64 v[62:63], v[26:27], s[0:1], -v[64:65]
	v_mul_f64_e32 v[64:65], s[46:47], v[30:31]
	s_delay_alu instid0(VALU_DEP_3) | instskip(NEXT) | instid1(VALU_DEP_3)
	v_add_f64_e32 v[74:75], v[74:75], v[78:79]
	v_add_f64_e32 v[62:63], v[62:63], v[68:69]
	s_delay_alu instid0(VALU_DEP_3) | instskip(SKIP_2) | instid1(VALU_DEP_3)
	v_fma_f64 v[68:69], v[24:25], s[10:11], -v[64:65]
	v_mul_f64_e32 v[78:79], s[46:47], v[28:29]
	v_fma_f64 v[64:65], v[24:25], s[10:11], v[64:65]
	v_add_f64_e32 v[68:69], v[68:69], v[80:81]
	s_delay_alu instid0(VALU_DEP_3) | instskip(NEXT) | instid1(VALU_DEP_3)
	v_fma_f64 v[80:81], v[26:27], s[10:11], v[78:79]
	v_add_f64_e32 v[64:65], v[64:65], v[76:77]
	v_fma_f64 v[76:77], v[26:27], s[10:11], -v[78:79]
	v_mul_f64_e32 v[78:79], s[40:41], v[30:31]
	v_mul_f64_e32 v[30:31], s[44:45], v[30:31]
	v_add_f64_e32 v[80:81], v[80:81], v[109:110]
	v_mul_f64_e32 v[109:110], s[40:41], v[28:29]
	v_add_f64_e32 v[76:77], v[76:77], v[82:83]
	v_fma_f64 v[82:83], v[24:25], s[38:39], -v[78:79]
	v_fma_f64 v[78:79], v[24:25], s[38:39], v[78:79]
	v_mul_f64_e32 v[28:29], s[44:45], v[28:29]
	s_delay_alu instid0(VALU_DEP_3) | instskip(SKIP_1) | instid1(VALU_DEP_4)
	v_add_f64_e32 v[82:83], v[82:83], v[111:112]
	v_fma_f64 v[111:112], v[26:27], s[38:39], v[109:110]
	v_add_f64_e32 v[78:79], v[78:79], v[84:85]
	v_fma_f64 v[84:85], v[26:27], s[38:39], -v[109:110]
	v_fma_f64 v[109:110], v[24:25], s[8:9], -v[30:31]
	v_fma_f64 v[24:25], v[24:25], s[8:9], v[30:31]
	v_add_f64_e32 v[111:112], v[111:112], v[117:118]
	s_delay_alu instid0(VALU_DEP_4) | instskip(SKIP_1) | instid1(VALU_DEP_4)
	v_add_f64_e32 v[84:85], v[84:85], v[113:114]
	v_fma_f64 v[113:114], v[26:27], s[8:9], v[28:29]
	v_add_f64_e32 v[20:21], v[24:25], v[20:21]
	v_fma_f64 v[24:25], v[26:27], s[8:9], -v[28:29]
	v_add_f64_e32 v[26:27], v[14:15], v[18:19]
	v_add_f64_e64 v[14:15], v[14:15], -v[18:19]
	v_add_f64_e32 v[109:110], v[109:110], v[119:120]
	v_add_f64_e32 v[113:114], v[113:114], v[121:122]
	;; [unrolled: 1-line block ×4, first 2 shown]
	v_add_f64_e64 v[12:13], v[12:13], -v[16:17]
	v_mul_f64_e32 v[16:17], s[36:37], v[14:15]
	s_delay_alu instid0(VALU_DEP_2) | instskip(NEXT) | instid1(VALU_DEP_2)
	v_mul_f64_e32 v[28:29], s[36:37], v[12:13]
	v_fma_f64 v[18:19], v[24:25], s[34:35], -v[16:17]
	v_fma_f64 v[16:17], v[24:25], s[34:35], v[16:17]
	s_delay_alu instid0(VALU_DEP_3) | instskip(SKIP_1) | instid1(VALU_DEP_3)
	v_fma_f64 v[30:31], v[26:27], s[34:35], v[28:29]
	v_fma_f64 v[28:29], v[26:27], s[34:35], -v[28:29]
	v_add_f64_e32 v[16:17], v[16:17], v[32:33]
	v_mul_f64_e32 v[32:33], s[44:45], v[14:15]
	v_add_f64_e32 v[18:19], v[18:19], v[38:39]
	v_mul_f64_e32 v[38:39], s[44:45], v[12:13]
	v_add_f64_e32 v[30:31], v[30:31], v[58:59]
	v_add_f64_e32 v[28:29], v[28:29], v[34:35]
	v_fma_f64 v[34:35], v[24:25], s[8:9], -v[32:33]
	v_fma_f64 v[32:33], v[24:25], s[8:9], v[32:33]
	v_add_f64_e32 v[6:7], v[6:7], v[18:19]
	v_mul_f64_e32 v[18:19], s[36:37], v[129:130]
	s_delay_alu instid0(VALU_DEP_4) | instskip(SKIP_4) | instid1(VALU_DEP_4)
	v_add_f64_e32 v[34:35], v[34:35], v[42:43]
	v_fma_f64 v[42:43], v[26:27], s[8:9], v[38:39]
	v_add_f64_e32 v[32:33], v[32:33], v[36:37]
	v_fma_f64 v[36:37], v[26:27], s[8:9], -v[38:39]
	v_mul_f64_e32 v[38:39], s[42:43], v[14:15]
	v_add_f64_e32 v[42:43], v[42:43], v[66:67]
	s_delay_alu instid0(VALU_DEP_3) | instskip(NEXT) | instid1(VALU_DEP_3)
	v_add_f64_e32 v[36:37], v[36:37], v[40:41]
	v_fma_f64 v[40:41], v[24:25], s[0:1], -v[38:39]
	v_fma_f64 v[38:39], v[24:25], s[0:1], v[38:39]
	s_delay_alu instid0(VALU_DEP_2) | instskip(SKIP_1) | instid1(VALU_DEP_3)
	v_add_f64_e32 v[40:41], v[40:41], v[46:47]
	v_mul_f64_e32 v[46:47], s[42:43], v[12:13]
	v_add_f64_e32 v[38:39], v[38:39], v[44:45]
	s_delay_alu instid0(VALU_DEP_2) | instskip(SKIP_2) | instid1(VALU_DEP_3)
	v_fma_f64 v[58:59], v[26:27], s[0:1], v[46:47]
	v_fma_f64 v[44:45], v[26:27], s[0:1], -v[46:47]
	v_mul_f64_e32 v[46:47], s[60:61], v[14:15]
	v_add_f64_e32 v[58:59], v[58:59], v[70:71]
	s_delay_alu instid0(VALU_DEP_3) | instskip(NEXT) | instid1(VALU_DEP_3)
	v_add_f64_e32 v[44:45], v[44:45], v[48:49]
	v_fma_f64 v[48:49], v[24:25], s[26:27], -v[46:47]
	v_fma_f64 v[46:47], v[24:25], s[26:27], v[46:47]
	s_delay_alu instid0(VALU_DEP_2) | instskip(SKIP_1) | instid1(VALU_DEP_3)
	v_add_f64_e32 v[48:49], v[48:49], v[52:53]
	v_mul_f64_e32 v[52:53], s[60:61], v[12:13]
	v_add_f64_e32 v[46:47], v[46:47], v[50:51]
	s_delay_alu instid0(VALU_DEP_2) | instskip(SKIP_2) | instid1(VALU_DEP_3)
	v_fma_f64 v[66:67], v[26:27], s[26:27], v[52:53]
	v_fma_f64 v[50:51], v[26:27], s[26:27], -v[52:53]
	v_mul_f64_e32 v[52:53], s[30:31], v[14:15]
	v_add_f64_e32 v[70:71], v[66:67], v[72:73]
	s_delay_alu instid0(VALU_DEP_3) | instskip(NEXT) | instid1(VALU_DEP_3)
	v_add_f64_e32 v[50:51], v[50:51], v[54:55]
	v_fma_f64 v[54:55], v[24:25], s[18:19], -v[52:53]
	v_fma_f64 v[52:53], v[24:25], s[18:19], v[52:53]
	v_add_f64_e32 v[66:67], v[10:11], v[16:17]
	v_mul_f64_e32 v[16:17], s[48:49], v[0:1]
	s_delay_alu instid0(VALU_DEP_4) | instskip(SKIP_2) | instid1(VALU_DEP_2)
	v_add_f64_e32 v[72:73], v[54:55], v[60:61]
	v_mul_f64_e32 v[54:55], s[30:31], v[12:13]
	v_add_f64_e32 v[52:53], v[52:53], v[56:57]
	v_fma_f64 v[60:61], v[26:27], s[18:19], v[54:55]
	v_fma_f64 v[54:55], v[26:27], s[18:19], -v[54:55]
	s_delay_alu instid0(VALU_DEP_2) | instskip(NEXT) | instid1(VALU_DEP_2)
	v_add_f64_e32 v[74:75], v[60:61], v[74:75]
	v_add_f64_e32 v[115:116], v[54:55], v[62:63]
	v_mul_f64_e32 v[54:55], s[40:41], v[14:15]
	s_delay_alu instid0(VALU_DEP_1) | instskip(SKIP_1) | instid1(VALU_DEP_2)
	v_fma_f64 v[56:57], v[24:25], s[38:39], -v[54:55]
	v_fma_f64 v[54:55], v[24:25], s[38:39], v[54:55]
	v_add_f64_e32 v[117:118], v[56:57], v[68:69]
	v_mul_f64_e32 v[56:57], s[40:41], v[12:13]
	s_delay_alu instid0(VALU_DEP_3) | instskip(NEXT) | instid1(VALU_DEP_2)
	v_add_f64_e32 v[119:120], v[54:55], v[64:65]
	v_fma_f64 v[54:55], v[26:27], s[38:39], -v[56:57]
	v_fma_f64 v[60:61], v[26:27], s[38:39], v[56:57]
	s_delay_alu instid0(VALU_DEP_2) | instskip(SKIP_2) | instid1(VALU_DEP_4)
	v_add_f64_e32 v[76:77], v[54:55], v[76:77]
	v_mul_f64_e32 v[54:55], s[50:51], v[14:15]
	v_mul_f64_e32 v[14:15], s[24:25], v[14:15]
	v_add_f64_e32 v[80:81], v[60:61], v[80:81]
	s_delay_alu instid0(VALU_DEP_3) | instskip(SKIP_1) | instid1(VALU_DEP_2)
	v_fma_f64 v[56:57], v[24:25], s[10:11], -v[54:55]
	v_fma_f64 v[54:55], v[24:25], s[10:11], v[54:55]
	v_add_f64_e32 v[82:83], v[56:57], v[82:83]
	v_mul_f64_e32 v[56:57], s[50:51], v[12:13]
	s_delay_alu instid0(VALU_DEP_3) | instskip(SKIP_1) | instid1(VALU_DEP_3)
	v_add_f64_e32 v[78:79], v[54:55], v[78:79]
	v_mul_f64_e32 v[12:13], s[24:25], v[12:13]
	v_fma_f64 v[54:55], v[26:27], s[10:11], -v[56:57]
	v_fma_f64 v[60:61], v[26:27], s[10:11], v[56:57]
	s_delay_alu instid0(VALU_DEP_2) | instskip(SKIP_2) | instid1(VALU_DEP_4)
	v_add_f64_e32 v[84:85], v[54:55], v[84:85]
	v_fma_f64 v[54:55], v[24:25], s[16:17], -v[14:15]
	v_fma_f64 v[14:15], v[24:25], s[16:17], v[14:15]
	v_add_f64_e32 v[111:112], v[60:61], v[111:112]
	v_mul_f64_e32 v[24:25], s[50:51], v[0:1]
	s_delay_alu instid0(VALU_DEP_4)
	v_add_f64_e32 v[109:110], v[54:55], v[109:110]
	v_fma_f64 v[54:55], v[26:27], s[16:17], v[12:13]
	v_fma_f64 v[12:13], v[26:27], s[16:17], -v[12:13]
	v_add_f64_e32 v[121:122], v[14:15], v[20:21]
	v_mul_f64_e32 v[14:15], s[48:49], v[129:130]
	v_mul_f64_e32 v[20:21], s[36:37], v[0:1]
	;; [unrolled: 1-line block ×3, first 2 shown]
	v_add_f64_e32 v[113:114], v[54:55], v[113:114]
	v_add_f64_e32 v[123:124], v[12:13], v[22:23]
	v_mul_f64_e32 v[12:13], s[40:41], v[0:1]
	v_mul_f64_e32 v[22:23], s[50:51], v[129:130]
	s_delay_alu instid0(VALU_DEP_2) | instskip(SKIP_2) | instid1(VALU_DEP_3)
	v_fma_f64 v[10:11], v[127:128], s[38:39], -v[12:13]
	v_fma_f64 v[8:9], v[127:128], s[38:39], v[12:13]
	v_fma_f64 v[12:13], v[127:128], s[18:19], v[16:17]
	v_add_f64_e32 v[64:65], v[10:11], v[28:29]
	v_fma_f64 v[10:11], v[125:126], s[18:19], -v[14:15]
	v_fma_f64 v[14:15], v[125:126], s[18:19], v[14:15]
	v_mul_f64_e32 v[28:29], s[28:29], v[0:1]
	v_add_f64_e32 v[8:9], v[8:9], v[30:31]
	v_mul_f64_e32 v[30:31], s[44:45], v[129:130]
	v_add_f64_e32 v[12:13], v[12:13], v[42:43]
	v_add_f64_e32 v[10:11], v[10:11], v[34:35]
	;; [unrolled: 1-line block ×3, first 2 shown]
	v_fma_f64 v[14:15], v[127:128], s[18:19], -v[16:17]
	v_fma_f64 v[16:17], v[127:128], s[34:35], v[20:21]
	v_mul_f64_e32 v[32:33], s[44:45], v[0:1]
	v_mul_f64_e32 v[34:35], s[24:25], v[129:130]
	s_delay_alu instid0(VALU_DEP_4)
	v_add_f64_e32 v[68:69], v[14:15], v[36:37]
	v_fma_f64 v[14:15], v[125:126], s[34:35], -v[18:19]
	v_fma_f64 v[18:19], v[125:126], s[34:35], v[18:19]
	v_add_f64_e32 v[16:17], v[16:17], v[58:59]
	v_mul_f64_e32 v[36:37], s[24:25], v[0:1]
	v_mul_f64_e32 v[0:1], s[56:57], v[0:1]
	v_add_f64_e32 v[14:15], v[14:15], v[40:41]
	v_add_f64_e32 v[58:59], v[18:19], v[38:39]
	v_fma_f64 v[18:19], v[127:128], s[34:35], -v[20:21]
	v_fma_f64 v[20:21], v[127:128], s[10:11], v[24:25]
	v_mul_f64_e32 v[38:39], s[56:57], v[129:130]
	s_delay_alu instid0(VALU_DEP_3) | instskip(SKIP_3) | instid1(VALU_DEP_3)
	v_add_f64_e32 v[60:61], v[18:19], v[44:45]
	v_fma_f64 v[18:19], v[125:126], s[10:11], -v[22:23]
	v_fma_f64 v[22:23], v[125:126], s[10:11], v[22:23]
	v_add_f64_e32 v[20:21], v[20:21], v[70:71]
	v_add_f64_e32 v[18:19], v[18:19], v[48:49]
	s_delay_alu instid0(VALU_DEP_3) | instskip(SKIP_2) | instid1(VALU_DEP_2)
	v_add_f64_e32 v[54:55], v[22:23], v[46:47]
	v_fma_f64 v[22:23], v[127:128], s[10:11], -v[24:25]
	v_fma_f64 v[24:25], v[127:128], s[26:27], v[28:29]
	v_add_f64_e32 v[56:57], v[22:23], v[50:51]
	v_fma_f64 v[22:23], v[125:126], s[26:27], -v[26:27]
	v_fma_f64 v[26:27], v[125:126], s[26:27], v[26:27]
	s_delay_alu instid0(VALU_DEP_4) | instskip(NEXT) | instid1(VALU_DEP_3)
	v_add_f64_e32 v[24:25], v[24:25], v[74:75]
	v_add_f64_e32 v[22:23], v[22:23], v[72:73]
	s_delay_alu instid0(VALU_DEP_3) | instskip(SKIP_2) | instid1(VALU_DEP_2)
	v_add_f64_e32 v[50:51], v[26:27], v[52:53]
	v_fma_f64 v[26:27], v[127:128], s[26:27], -v[28:29]
	v_fma_f64 v[28:29], v[127:128], s[8:9], v[32:33]
	v_add_f64_e32 v[52:53], v[26:27], v[115:116]
	v_fma_f64 v[26:27], v[125:126], s[8:9], -v[30:31]
	v_fma_f64 v[30:31], v[125:126], s[8:9], v[30:31]
	s_delay_alu instid0(VALU_DEP_4) | instskip(NEXT) | instid1(VALU_DEP_3)
	;; [unrolled: 10-line block ×3, first 2 shown]
	v_add_f64_e32 v[32:33], v[32:33], v[111:112]
	v_add_f64_e32 v[30:31], v[30:31], v[82:83]
	s_delay_alu instid0(VALU_DEP_3) | instskip(SKIP_4) | instid1(VALU_DEP_4)
	v_add_f64_e32 v[42:43], v[34:35], v[78:79]
	v_fma_f64 v[34:35], v[127:128], s[16:17], -v[36:37]
	v_fma_f64 v[36:37], v[127:128], s[0:1], v[0:1]
	v_fma_f64 v[0:1], v[127:128], s[0:1], -v[0:1]
	v_mul_lo_u32 v78, v108, v107
	v_add_f64_e32 v[44:45], v[34:35], v[84:85]
	v_fma_f64 v[34:35], v[125:126], s[0:1], -v[38:39]
	s_delay_alu instid0(VALU_DEP_4) | instskip(NEXT) | instid1(VALU_DEP_4)
	v_add_f64_e32 v[40:41], v[0:1], v[123:124]
	v_and_b32_e32 v0, 63, v78
	v_fma_f64 v[38:39], v[125:126], s[0:1], v[38:39]
	s_add_co_i32 s0, 0, 0x7e70
	v_add_f64_e32 v[36:37], v[36:37], v[113:114]
	s_delay_alu instid0(VALU_DEP_3) | instskip(SKIP_2) | instid1(VALU_DEP_1)
	v_lshl_add_u32 v0, v0, 4, 0
	ds_load_b128 v[70:73], v0 offset:32368
	v_lshrrev_b32_e32 v0, 2, v78
	v_and_b32_e32 v0, 0x3f0, v0
	s_wait_alu 0xfffe
	s_delay_alu instid0(VALU_DEP_1)
	v_add_nc_u32_e32 v0, s0, v0
	ds_load_b128 v[74:77], v0 offset:1024
	v_add_f64_e32 v[34:35], v[34:35], v[109:110]
	v_add_f64_e32 v[38:39], v[38:39], v[121:122]
	s_wait_dscnt 0x0
	v_mul_f64_e32 v[0:1], v[72:73], v[76:77]
	s_delay_alu instid0(VALU_DEP_1) | instskip(SKIP_1) | instid1(VALU_DEP_1)
	v_fma_f64 v[0:1], v[70:71], v[74:75], -v[0:1]
	v_mul_f64_e32 v[70:71], v[70:71], v[76:77]
	v_fma_f64 v[74:75], v[72:73], v[74:75], v[70:71]
	v_lshrrev_b32_e32 v70, 8, v78
	s_delay_alu instid0(VALU_DEP_1) | instskip(NEXT) | instid1(VALU_DEP_1)
	v_and_b32_e32 v70, 0x3f0, v70
	v_add_nc_u32_e32 v70, s0, v70
	ds_load_b128 v[70:73], v70 offset:2048
	s_wait_dscnt 0x0
	v_mul_f64_e32 v[76:77], v[74:75], v[72:73]
	s_delay_alu instid0(VALU_DEP_1) | instskip(SKIP_1) | instid1(VALU_DEP_1)
	v_fma_f64 v[76:77], v[70:71], v[0:1], -v[76:77]
	v_mul_f64_e32 v[0:1], v[0:1], v[72:73]
	v_fma_f64 v[70:71], v[70:71], v[74:75], v[0:1]
	s_delay_alu instid0(VALU_DEP_1) | instskip(NEXT) | instid1(VALU_DEP_1)
	v_mul_f64_e32 v[0:1], v[4:5], v[70:71]
	v_fma_f64 v[0:1], v[2:3], v[76:77], -v[0:1]
	v_mul_f64_e32 v[2:3], v[2:3], v[70:71]
	v_lshl_add_u32 v70, v107, 4, v107
	s_delay_alu instid0(VALU_DEP_1) | instskip(NEXT) | instid1(VALU_DEP_3)
	v_add_nc_u32_e32 v79, v78, v70
	v_fma_f64 v[2:3], v[4:5], v[76:77], v[2:3]
	s_delay_alu instid0(VALU_DEP_2) | instskip(NEXT) | instid1(VALU_DEP_1)
	v_and_b32_e32 v4, 63, v79
	v_lshl_add_u32 v4, v4, 4, 0
	ds_load_b128 v[71:74], v4 offset:32368
	v_lshrrev_b32_e32 v4, 2, v79
	s_delay_alu instid0(VALU_DEP_1) | instskip(NEXT) | instid1(VALU_DEP_1)
	v_and_b32_e32 v4, 0x3f0, v4
	v_add_nc_u32_e32 v4, s0, v4
	ds_load_b128 v[75:78], v4 offset:1024
	s_wait_dscnt 0x0
	v_mul_f64_e32 v[4:5], v[73:74], v[77:78]
	s_delay_alu instid0(VALU_DEP_1) | instskip(SKIP_1) | instid1(VALU_DEP_1)
	v_fma_f64 v[4:5], v[71:72], v[75:76], -v[4:5]
	v_mul_f64_e32 v[71:72], v[71:72], v[77:78]
	v_fma_f64 v[75:76], v[73:74], v[75:76], v[71:72]
	v_lshrrev_b32_e32 v71, 8, v79
	v_add_nc_u32_e32 v79, v79, v70
	s_delay_alu instid0(VALU_DEP_2) | instskip(NEXT) | instid1(VALU_DEP_1)
	v_and_b32_e32 v71, 0x3f0, v71
	v_add_nc_u32_e32 v71, s0, v71
	ds_load_b128 v[71:74], v71 offset:2048
	s_wait_dscnt 0x0
	v_mul_f64_e32 v[77:78], v[75:76], v[73:74]
	s_delay_alu instid0(VALU_DEP_1) | instskip(SKIP_1) | instid1(VALU_DEP_1)
	v_fma_f64 v[77:78], v[71:72], v[4:5], -v[77:78]
	v_mul_f64_e32 v[4:5], v[4:5], v[73:74]
	v_fma_f64 v[71:72], v[71:72], v[75:76], v[4:5]
	s_delay_alu instid0(VALU_DEP_1) | instskip(NEXT) | instid1(VALU_DEP_1)
	v_mul_f64_e32 v[4:5], v[8:9], v[71:72]
	v_fma_f64 v[4:5], v[6:7], v[77:78], -v[4:5]
	v_mul_f64_e32 v[6:7], v[6:7], v[71:72]
	s_delay_alu instid0(VALU_DEP_1) | instskip(SKIP_1) | instid1(VALU_DEP_1)
	v_fma_f64 v[6:7], v[8:9], v[77:78], v[6:7]
	v_and_b32_e32 v8, 63, v79
	v_lshl_add_u32 v8, v8, 4, 0
	ds_load_b128 v[71:74], v8 offset:32368
	v_lshrrev_b32_e32 v8, 2, v79
	s_delay_alu instid0(VALU_DEP_1) | instskip(NEXT) | instid1(VALU_DEP_1)
	v_and_b32_e32 v8, 0x3f0, v8
	v_add_nc_u32_e32 v8, s0, v8
	ds_load_b128 v[75:78], v8 offset:1024
	s_wait_dscnt 0x0
	v_mul_f64_e32 v[8:9], v[73:74], v[77:78]
	s_delay_alu instid0(VALU_DEP_1) | instskip(SKIP_1) | instid1(VALU_DEP_1)
	v_fma_f64 v[8:9], v[71:72], v[75:76], -v[8:9]
	v_mul_f64_e32 v[71:72], v[71:72], v[77:78]
	v_fma_f64 v[75:76], v[73:74], v[75:76], v[71:72]
	v_lshrrev_b32_e32 v71, 8, v79
	v_add_nc_u32_e32 v79, v79, v70
	s_delay_alu instid0(VALU_DEP_2) | instskip(NEXT) | instid1(VALU_DEP_1)
	v_and_b32_e32 v71, 0x3f0, v71
	v_add_nc_u32_e32 v71, s0, v71
	ds_load_b128 v[71:74], v71 offset:2048
	s_wait_dscnt 0x0
	v_mul_f64_e32 v[77:78], v[75:76], v[73:74]
	s_delay_alu instid0(VALU_DEP_1) | instskip(SKIP_1) | instid1(VALU_DEP_1)
	v_fma_f64 v[77:78], v[71:72], v[8:9], -v[77:78]
	v_mul_f64_e32 v[8:9], v[8:9], v[73:74]
	v_fma_f64 v[71:72], v[71:72], v[75:76], v[8:9]
	s_delay_alu instid0(VALU_DEP_1) | instskip(NEXT) | instid1(VALU_DEP_1)
	v_mul_f64_e32 v[8:9], v[12:13], v[71:72]
	v_fma_f64 v[8:9], v[10:11], v[77:78], -v[8:9]
	v_mul_f64_e32 v[10:11], v[10:11], v[71:72]
	s_delay_alu instid0(VALU_DEP_1) | instskip(SKIP_1) | instid1(VALU_DEP_1)
	v_fma_f64 v[10:11], v[12:13], v[77:78], v[10:11]
	;; [unrolled: 32-line block ×14, first 2 shown]
	v_and_b32_e32 v60, 63, v79
	v_lshl_add_u32 v60, v60, 4, 0
	ds_load_b128 v[71:74], v60 offset:32368
	v_lshrrev_b32_e32 v60, 2, v79
	s_delay_alu instid0(VALU_DEP_1) | instskip(NEXT) | instid1(VALU_DEP_1)
	v_and_b32_e32 v60, 0x3f0, v60
	v_add_nc_u32_e32 v60, s0, v60
	ds_load_b128 v[75:78], v60 offset:1024
	s_wait_dscnt 0x0
	v_mul_f64_e32 v[60:61], v[73:74], v[77:78]
	s_delay_alu instid0(VALU_DEP_1) | instskip(SKIP_1) | instid1(VALU_DEP_1)
	v_fma_f64 v[60:61], v[71:72], v[75:76], -v[60:61]
	v_mul_f64_e32 v[71:72], v[71:72], v[77:78]
	v_fma_f64 v[75:76], v[73:74], v[75:76], v[71:72]
	v_lshrrev_b32_e32 v71, 8, v79
	s_delay_alu instid0(VALU_DEP_1) | instskip(NEXT) | instid1(VALU_DEP_1)
	v_and_b32_e32 v71, 0x3f0, v71
	v_add_nc_u32_e32 v71, s0, v71
	ds_load_b128 v[71:74], v71 offset:2048
	s_wait_dscnt 0x0
	v_mul_f64_e32 v[77:78], v[75:76], v[73:74]
	s_delay_alu instid0(VALU_DEP_1) | instskip(SKIP_1) | instid1(VALU_DEP_1)
	v_fma_f64 v[77:78], v[71:72], v[60:61], -v[77:78]
	v_mul_f64_e32 v[60:61], v[60:61], v[73:74]
	v_fma_f64 v[71:72], v[71:72], v[75:76], v[60:61]
	s_delay_alu instid0(VALU_DEP_1) | instskip(NEXT) | instid1(VALU_DEP_1)
	v_mul_f64_e32 v[60:61], v[68:69], v[71:72]
	v_fma_f64 v[60:61], v[62:63], v[77:78], -v[60:61]
	v_mul_f64_e32 v[62:63], v[62:63], v[71:72]
	v_add_nc_u32_e32 v72, v79, v70
	s_delay_alu instid0(VALU_DEP_2) | instskip(NEXT) | instid1(VALU_DEP_2)
	v_fma_f64 v[62:63], v[68:69], v[77:78], v[62:63]
	v_and_b32_e32 v68, 63, v72
	s_delay_alu instid0(VALU_DEP_1) | instskip(SKIP_3) | instid1(VALU_DEP_2)
	v_lshl_add_u32 v68, v68, 4, 0
	ds_load_b128 v[73:76], v68 offset:32368
	v_lshrrev_b32_e32 v68, 2, v72
	v_lshrrev_b32_e32 v72, 8, v72
	v_and_b32_e32 v68, 0x3f0, v68
	s_delay_alu instid0(VALU_DEP_2) | instskip(NEXT) | instid1(VALU_DEP_2)
	v_and_b32_e32 v72, 0x3f0, v72
	v_add_nc_u32_e32 v68, s0, v68
	s_delay_alu instid0(VALU_DEP_2) | instskip(SKIP_3) | instid1(VALU_DEP_1)
	v_add_nc_u32_e32 v72, s0, v72
	ds_load_b128 v[77:80], v68 offset:1024
	s_wait_dscnt 0x0
	v_mul_f64_e32 v[68:69], v[75:76], v[79:80]
	v_fma_f64 v[70:71], v[73:74], v[77:78], -v[68:69]
	v_mul_f64_e32 v[68:69], v[73:74], v[79:80]
	s_delay_alu instid0(VALU_DEP_1)
	v_fma_f64 v[68:69], v[75:76], v[77:78], v[68:69]
	ds_load_b128 v[72:75], v72 offset:2048
	global_wb scope:SCOPE_SE
	s_wait_dscnt 0x0
	s_barrier_signal -1
	s_barrier_wait -1
	global_inv scope:SCOPE_SE
	v_mul_f64_e32 v[76:77], v[68:69], v[74:75]
	s_delay_alu instid0(VALU_DEP_1) | instskip(SKIP_1) | instid1(VALU_DEP_1)
	v_fma_f64 v[76:77], v[72:73], v[70:71], -v[76:77]
	v_mul_f64_e32 v[70:71], v[70:71], v[74:75]
	v_fma_f64 v[70:71], v[72:73], v[68:69], v[70:71]
	s_delay_alu instid0(VALU_DEP_1) | instskip(NEXT) | instid1(VALU_DEP_1)
	v_mul_f64_e32 v[68:69], v[64:65], v[70:71]
	v_fma_f64 v[68:69], v[66:67], v[76:77], -v[68:69]
	v_mul_f64_e32 v[66:67], v[66:67], v[70:71]
	s_delay_alu instid0(VALU_DEP_1)
	v_fma_f64 v[70:71], v[64:65], v[76:77], v[66:67]
	ds_store_b128 v106, v[0:3]
	ds_store_b128 v106, v[4:7] offset:272
	ds_store_b128 v106, v[8:11] offset:544
	;; [unrolled: 1-line block ×16, first 2 shown]
	global_wb scope:SCOPE_SE
	s_wait_dscnt 0x0
	s_barrier_signal -1
	s_barrier_wait -1
	global_inv scope:SCOPE_SE
	s_and_saveexec_b32 s0, s33
	s_cbranch_execz .LBB0_19
; %bb.18:
	v_mad_co_u64_u32 v[0:1], null, s14, v104, 0
	v_mad_co_u64_u32 v[2:3], null, s12, v101, 0
	s_mul_u64 s[0:1], s[6:7], s[20:21]
	s_lshl_b64 s[4:5], s[4:5], 4
	s_wait_alu 0xfffe
	s_lshl_b64 s[0:1], s[0:1], 4
	v_mad_co_u64_u32 v[10:11], null, s12, v99, 0
	s_wait_alu 0xfffe
	s_add_nc_u64 s[0:1], s[2:3], s[0:1]
	v_mad_co_u64_u32 v[4:5], null, s15, v104, v[1:2]
	s_wait_alu 0xfffe
	s_add_nc_u64 s[0:1], s[0:1], s[4:5]
	v_mad_co_u64_u32 v[14:15], null, s12, v100, 0
	v_mad_co_u64_u32 v[8:9], null, s12, v102, 0
	v_add3_u32 v30, 0, v105, v103
	s_delay_alu instid0(VALU_DEP_4) | instskip(SKIP_3) | instid1(VALU_DEP_3)
	v_mad_co_u64_u32 v[6:7], null, s13, v101, v[3:4]
	v_mov_b32_e32 v1, v4
	v_mad_co_u64_u32 v[20:21], null, s12, v95, 0
	v_mad_co_u64_u32 v[22:23], null, s12, v96, 0
	v_lshlrev_b64_e32 v[0:1], 4, v[0:1]
	v_mov_b32_e32 v3, v6
	s_wait_alu 0xfffe
	s_delay_alu instid0(VALU_DEP_2) | instskip(NEXT) | instid1(VALU_DEP_2)
	v_add_co_u32 v31, vcc_lo, s0, v0
	v_lshlrev_b64_e32 v[12:13], 4, v[2:3]
	s_wait_alu 0xfffd
	v_add_co_ci_u32_e32 v32, vcc_lo, s1, v1, vcc_lo
	s_delay_alu instid0(VALU_DEP_2) | instskip(SKIP_1) | instid1(VALU_DEP_2)
	v_add_co_u32 v12, vcc_lo, v31, v12
	s_wait_alu 0xfffd
	v_add_co_ci_u32_e32 v13, vcc_lo, v32, v13, vcc_lo
	s_delay_alu instid0(VALU_DEP_2) | instskip(NEXT) | instid1(VALU_DEP_1)
	v_mad_co_u64_u32 v[16:17], null, s13, v99, v[11:12]
	v_mad_co_u64_u32 v[17:18], null, s13, v100, v[15:16]
	;; [unrolled: 1-line block ×3, first 2 shown]
	v_mov_b32_e32 v5, v9
	v_mov_b32_e32 v11, v16
	s_delay_alu instid0(VALU_DEP_4) | instskip(NEXT) | instid1(VALU_DEP_3)
	v_mov_b32_e32 v15, v17
	v_mad_co_u64_u32 v[4:5], null, s13, v102, v[5:6]
	s_delay_alu instid0(VALU_DEP_2) | instskip(NEXT) | instid1(VALU_DEP_2)
	v_lshlrev_b64_e32 v[14:15], 4, v[14:15]
	v_mov_b32_e32 v9, v4
	ds_load_b128 v[0:3], v30
	ds_load_b128 v[4:7], v30 offset:272
	v_lshlrev_b64_e32 v[8:9], 4, v[8:9]
	s_delay_alu instid0(VALU_DEP_1) | instskip(SKIP_1) | instid1(VALU_DEP_2)
	v_add_co_u32 v8, vcc_lo, v31, v8
	s_wait_alu 0xfffd
	v_add_co_ci_u32_e32 v9, vcc_lo, v32, v9, vcc_lo
	s_wait_dscnt 0x1
	global_store_b128 v[12:13], v[0:3], off
	v_lshlrev_b64_e32 v[1:2], 4, v[10:11]
	v_mov_b32_e32 v0, v19
	s_wait_dscnt 0x0
	global_store_b128 v[8:9], v[4:7], off
	v_mad_co_u64_u32 v[12:13], null, s12, v97, 0
	v_add_co_u32 v16, vcc_lo, v31, v1
	v_mad_co_u64_u32 v[8:9], null, s13, v98, v[0:1]
	s_wait_alu 0xfffd
	v_add_co_ci_u32_e32 v17, vcc_lo, v32, v2, vcc_lo
	ds_load_b128 v[0:3], v30 offset:544
	ds_load_b128 v[4:7], v30 offset:816
	v_add_co_u32 v14, vcc_lo, v31, v14
	s_wait_alu 0xfffd
	v_add_co_ci_u32_e32 v15, vcc_lo, v32, v15, vcc_lo
	v_mov_b32_e32 v19, v8
	ds_load_b128 v[8:11], v30 offset:1088
	v_mad_co_u64_u32 v[24:25], null, s13, v97, v[13:14]
	v_mov_b32_e32 v13, v21
	v_lshlrev_b64_e32 v[18:19], 4, v[18:19]
	v_mov_b32_e32 v21, v23
	s_wait_dscnt 0x2
	global_store_b128 v[16:17], v[0:3], off
	s_wait_dscnt 0x1
	global_store_b128 v[14:15], v[4:7], off
	v_mad_co_u64_u32 v[25:26], null, s13, v95, v[13:14]
	v_mov_b32_e32 v13, v24
	v_add_co_u32 v18, vcc_lo, v31, v18
	s_wait_alu 0xfffd
	v_add_co_ci_u32_e32 v19, vcc_lo, v32, v19, vcc_lo
	s_delay_alu instid0(VALU_DEP_3)
	v_lshlrev_b64_e32 v[4:5], 4, v[12:13]
	v_mad_co_u64_u32 v[26:27], null, s13, v96, v[21:22]
	s_wait_dscnt 0x0
	global_store_b128 v[18:19], v[8:11], off
	ds_load_b128 v[0:3], v30 offset:1360
	v_mov_b32_e32 v21, v25
	v_add_co_u32 v14, vcc_lo, v31, v4
	s_wait_alu 0xfffd
	v_add_co_ci_u32_e32 v15, vcc_lo, v32, v5, vcc_lo
	ds_load_b128 v[4:7], v30 offset:1632
	ds_load_b128 v[8:11], v30 offset:1904
	v_mad_co_u64_u32 v[12:13], null, s12, v94, 0
	v_mov_b32_e32 v23, v26
	v_lshlrev_b64_e32 v[16:17], 4, v[20:21]
	v_mad_co_u64_u32 v[20:21], null, s12, v93, 0
	s_delay_alu instid0(VALU_DEP_3) | instskip(SKIP_1) | instid1(VALU_DEP_4)
	v_lshlrev_b64_e32 v[18:19], 4, v[22:23]
	v_mad_co_u64_u32 v[22:23], null, s13, v94, v[13:14]
	v_add_co_u32 v16, vcc_lo, v31, v16
	s_wait_alu 0xfffd
	v_add_co_ci_u32_e32 v17, vcc_lo, v32, v17, vcc_lo
	v_mad_co_u64_u32 v[23:24], null, s12, v92, 0
	v_add_co_u32 v18, vcc_lo, v31, v18
	s_wait_alu 0xfffd
	v_add_co_ci_u32_e32 v19, vcc_lo, v32, v19, vcc_lo
	v_mov_b32_e32 v13, v22
	v_mad_co_u64_u32 v[21:22], null, s13, v93, v[21:22]
	s_wait_dscnt 0x2
	global_store_b128 v[14:15], v[0:3], off
	s_wait_dscnt 0x1
	global_store_b128 v[16:17], v[4:7], off
	;; [unrolled: 2-line block ×3, first 2 shown]
	v_mad_co_u64_u32 v[16:17], null, s12, v91, 0
	v_mov_b32_e32 v2, v24
	v_lshlrev_b64_e32 v[0:1], 4, v[12:13]
	v_lshlrev_b64_e32 v[10:11], 4, v[20:21]
	s_delay_alu instid0(VALU_DEP_3) | instskip(SKIP_1) | instid1(VALU_DEP_4)
	v_mad_co_u64_u32 v[8:9], null, s13, v92, v[2:3]
	v_mov_b32_e32 v9, v17
	v_add_co_u32 v18, vcc_lo, v31, v0
	s_wait_alu 0xfffd
	v_add_co_ci_u32_e32 v19, vcc_lo, v32, v1, vcc_lo
	s_delay_alu instid0(VALU_DEP_3)
	v_mad_co_u64_u32 v[20:21], null, s13, v91, v[9:10]
	v_mad_co_u64_u32 v[21:22], null, s12, v90, 0
	ds_load_b128 v[0:3], v30 offset:2176
	ds_load_b128 v[4:7], v30 offset:2448
	v_add_co_u32 v25, vcc_lo, v31, v10
	v_dual_mov_b32 v24, v8 :: v_dual_mov_b32 v17, v20
	s_wait_alu 0xfffd
	v_add_co_ci_u32_e32 v26, vcc_lo, v32, v11, vcc_lo
	v_mov_b32_e32 v20, v22
	ds_load_b128 v[8:11], v30 offset:2720
	ds_load_b128 v[12:15], v30 offset:2992
	v_lshlrev_b64_e32 v[23:24], 4, v[23:24]
	v_lshlrev_b64_e32 v[16:17], 4, v[16:17]
	v_mad_co_u64_u32 v[27:28], null, s13, v90, v[20:21]
	v_mad_co_u64_u32 v[28:29], null, s12, v89, 0
	s_delay_alu instid0(VALU_DEP_4) | instskip(SKIP_2) | instid1(VALU_DEP_4)
	v_add_co_u32 v23, vcc_lo, v31, v23
	s_wait_alu 0xfffd
	v_add_co_ci_u32_e32 v24, vcc_lo, v32, v24, vcc_lo
	v_mov_b32_e32 v22, v27
	s_wait_dscnt 0x3
	global_store_b128 v[18:19], v[0:3], off
	v_add_co_u32 v16, vcc_lo, v31, v16
	v_mov_b32_e32 v0, v29
	v_lshlrev_b64_e32 v[1:2], 4, v[21:22]
	s_wait_alu 0xfffd
	v_add_co_ci_u32_e32 v17, vcc_lo, v32, v17, vcc_lo
	s_wait_dscnt 0x2
	global_store_b128 v[25:26], v[4:7], off
	s_wait_dscnt 0x1
	global_store_b128 v[23:24], v[8:11], off
	;; [unrolled: 2-line block ×3, first 2 shown]
	v_mad_co_u64_u32 v[8:9], null, s12, v88, 0
	v_mad_co_u64_u32 v[3:4], null, s13, v89, v[0:1]
	;; [unrolled: 1-line block ×4, first 2 shown]
	s_delay_alu instid0(VALU_DEP_4)
	v_mov_b32_e32 v0, v9
	v_add_co_u32 v22, vcc_lo, v31, v1
	v_mov_b32_e32 v29, v3
	s_wait_alu 0xfffd
	v_add_co_ci_u32_e32 v23, vcc_lo, v32, v2, vcc_lo
	v_mad_co_u64_u32 v[9:10], null, s13, v88, v[0:1]
	v_mov_b32_e32 v10, v21
	v_lshlrev_b64_e32 v[11:12], 4, v[28:29]
	v_mov_b32_e32 v13, v25
	ds_load_b128 v[0:3], v30 offset:3264
	ds_load_b128 v[4:7], v30 offset:3536
	v_lshlrev_b64_e32 v[28:29], 4, v[8:9]
	v_mad_co_u64_u32 v[14:15], null, s13, v87, v[10:11]
	s_delay_alu instid0(VALU_DEP_1)
	v_mad_co_u64_u32 v[25:26], null, s13, v86, v[13:14]
	v_add_co_u32 v26, vcc_lo, v31, v11
	s_wait_alu 0xfffd
	v_add_co_ci_u32_e32 v27, vcc_lo, v32, v12, vcc_lo
	v_mov_b32_e32 v21, v14
	ds_load_b128 v[8:11], v30 offset:3808
	ds_load_b128 v[12:15], v30 offset:4080
	;; [unrolled: 1-line block ×3, first 2 shown]
	v_add_co_u32 v28, vcc_lo, v31, v28
	v_lshlrev_b64_e32 v[24:25], 4, v[24:25]
	v_lshlrev_b64_e32 v[20:21], 4, v[20:21]
	s_wait_alu 0xfffd
	v_add_co_ci_u32_e32 v29, vcc_lo, v32, v29, vcc_lo
	s_delay_alu instid0(VALU_DEP_2) | instskip(SKIP_1) | instid1(VALU_DEP_3)
	v_add_co_u32 v20, vcc_lo, v31, v20
	s_wait_alu 0xfffd
	v_add_co_ci_u32_e32 v21, vcc_lo, v32, v21, vcc_lo
	v_add_co_u32 v24, vcc_lo, v31, v24
	s_wait_alu 0xfffd
	v_add_co_ci_u32_e32 v25, vcc_lo, v32, v25, vcc_lo
	s_wait_dscnt 0x4
	global_store_b128 v[22:23], v[0:3], off
	s_wait_dscnt 0x3
	global_store_b128 v[26:27], v[4:7], off
	;; [unrolled: 2-line block ×5, first 2 shown]
.LBB0_19:
	s_nop 0
	s_sendmsg sendmsg(MSG_DEALLOC_VGPRS)
	s_endpgm
	.section	.rodata,"a",@progbits
	.p2align	6, 0x0
	.amdhsa_kernel fft_rtc_fwd_len289_factors_17_17_wgs_119_tpt_17_dp_op_CI_CI_sbcc_twdbase6_3step
		.amdhsa_group_segment_fixed_size 0
		.amdhsa_private_segment_fixed_size 0
		.amdhsa_kernarg_size 112
		.amdhsa_user_sgpr_count 2
		.amdhsa_user_sgpr_dispatch_ptr 0
		.amdhsa_user_sgpr_queue_ptr 0
		.amdhsa_user_sgpr_kernarg_segment_ptr 1
		.amdhsa_user_sgpr_dispatch_id 0
		.amdhsa_user_sgpr_private_segment_size 0
		.amdhsa_wavefront_size32 1
		.amdhsa_uses_dynamic_stack 0
		.amdhsa_enable_private_segment 0
		.amdhsa_system_sgpr_workgroup_id_x 1
		.amdhsa_system_sgpr_workgroup_id_y 0
		.amdhsa_system_sgpr_workgroup_id_z 0
		.amdhsa_system_sgpr_workgroup_info 0
		.amdhsa_system_vgpr_workitem_id 0
		.amdhsa_next_free_vgpr 159
		.amdhsa_next_free_sgpr 64
		.amdhsa_reserve_vcc 1
		.amdhsa_float_round_mode_32 0
		.amdhsa_float_round_mode_16_64 0
		.amdhsa_float_denorm_mode_32 3
		.amdhsa_float_denorm_mode_16_64 3
		.amdhsa_fp16_overflow 0
		.amdhsa_workgroup_processor_mode 1
		.amdhsa_memory_ordered 1
		.amdhsa_forward_progress 0
		.amdhsa_round_robin_scheduling 0
		.amdhsa_exception_fp_ieee_invalid_op 0
		.amdhsa_exception_fp_denorm_src 0
		.amdhsa_exception_fp_ieee_div_zero 0
		.amdhsa_exception_fp_ieee_overflow 0
		.amdhsa_exception_fp_ieee_underflow 0
		.amdhsa_exception_fp_ieee_inexact 0
		.amdhsa_exception_int_div_zero 0
	.end_amdhsa_kernel
	.text
.Lfunc_end0:
	.size	fft_rtc_fwd_len289_factors_17_17_wgs_119_tpt_17_dp_op_CI_CI_sbcc_twdbase6_3step, .Lfunc_end0-fft_rtc_fwd_len289_factors_17_17_wgs_119_tpt_17_dp_op_CI_CI_sbcc_twdbase6_3step
                                        ; -- End function
	.section	.AMDGPU.csdata,"",@progbits
; Kernel info:
; codeLenInByte = 18720
; NumSgprs: 66
; NumVgprs: 159
; ScratchSize: 0
; MemoryBound: 0
; FloatMode: 240
; IeeeMode: 1
; LDSByteSize: 0 bytes/workgroup (compile time only)
; SGPRBlocks: 8
; VGPRBlocks: 19
; NumSGPRsForWavesPerEU: 66
; NumVGPRsForWavesPerEU: 159
; Occupancy: 9
; WaveLimiterHint : 1
; COMPUTE_PGM_RSRC2:SCRATCH_EN: 0
; COMPUTE_PGM_RSRC2:USER_SGPR: 2
; COMPUTE_PGM_RSRC2:TRAP_HANDLER: 0
; COMPUTE_PGM_RSRC2:TGID_X_EN: 1
; COMPUTE_PGM_RSRC2:TGID_Y_EN: 0
; COMPUTE_PGM_RSRC2:TGID_Z_EN: 0
; COMPUTE_PGM_RSRC2:TIDIG_COMP_CNT: 0
	.text
	.p2alignl 7, 3214868480
	.fill 96, 4, 3214868480
	.type	__hip_cuid_f8fb29d73ffaf8f1,@object ; @__hip_cuid_f8fb29d73ffaf8f1
	.section	.bss,"aw",@nobits
	.globl	__hip_cuid_f8fb29d73ffaf8f1
__hip_cuid_f8fb29d73ffaf8f1:
	.byte	0                               ; 0x0
	.size	__hip_cuid_f8fb29d73ffaf8f1, 1

	.ident	"AMD clang version 19.0.0git (https://github.com/RadeonOpenCompute/llvm-project roc-6.4.0 25133 c7fe45cf4b819c5991fe208aaa96edf142730f1d)"
	.section	".note.GNU-stack","",@progbits
	.addrsig
	.addrsig_sym __hip_cuid_f8fb29d73ffaf8f1
	.amdgpu_metadata
---
amdhsa.kernels:
  - .args:
      - .actual_access:  read_only
        .address_space:  global
        .offset:         0
        .size:           8
        .value_kind:     global_buffer
      - .address_space:  global
        .offset:         8
        .size:           8
        .value_kind:     global_buffer
      - .offset:         16
        .size:           8
        .value_kind:     by_value
      - .actual_access:  read_only
        .address_space:  global
        .offset:         24
        .size:           8
        .value_kind:     global_buffer
      - .actual_access:  read_only
        .address_space:  global
        .offset:         32
        .size:           8
        .value_kind:     global_buffer
      - .actual_access:  read_only
        .address_space:  global
        .offset:         40
        .size:           8
        .value_kind:     global_buffer
      - .offset:         48
        .size:           8
        .value_kind:     by_value
      - .actual_access:  read_only
        .address_space:  global
        .offset:         56
        .size:           8
        .value_kind:     global_buffer
      - .actual_access:  read_only
        .address_space:  global
        .offset:         64
        .size:           8
        .value_kind:     global_buffer
      - .offset:         72
        .size:           4
        .value_kind:     by_value
      - .actual_access:  read_only
        .address_space:  global
        .offset:         80
        .size:           8
        .value_kind:     global_buffer
      - .actual_access:  read_only
        .address_space:  global
        .offset:         88
        .size:           8
        .value_kind:     global_buffer
      - .actual_access:  read_only
        .address_space:  global
        .offset:         96
        .size:           8
        .value_kind:     global_buffer
      - .actual_access:  write_only
        .address_space:  global
        .offset:         104
        .size:           8
        .value_kind:     global_buffer
    .group_segment_fixed_size: 0
    .kernarg_segment_align: 8
    .kernarg_segment_size: 112
    .language:       OpenCL C
    .language_version:
      - 2
      - 0
    .max_flat_workgroup_size: 119
    .name:           fft_rtc_fwd_len289_factors_17_17_wgs_119_tpt_17_dp_op_CI_CI_sbcc_twdbase6_3step
    .private_segment_fixed_size: 0
    .sgpr_count:     66
    .sgpr_spill_count: 0
    .symbol:         fft_rtc_fwd_len289_factors_17_17_wgs_119_tpt_17_dp_op_CI_CI_sbcc_twdbase6_3step.kd
    .uniform_work_group_size: 1
    .uses_dynamic_stack: false
    .vgpr_count:     159
    .vgpr_spill_count: 0
    .wavefront_size: 32
    .workgroup_processor_mode: 1
amdhsa.target:   amdgcn-amd-amdhsa--gfx1201
amdhsa.version:
  - 1
  - 2
...

	.end_amdgpu_metadata
